;; amdgpu-corpus repo=ROCm/rocFFT kind=compiled arch=gfx906 opt=O3
	.text
	.amdgcn_target "amdgcn-amd-amdhsa--gfx906"
	.amdhsa_code_object_version 6
	.protected	fft_rtc_fwd_len160_factors_2_4_4_5_wgs_250_tpt_10_dim3_sp_ip_CI_sbcc_twdbase8_3step_dirReg ; -- Begin function fft_rtc_fwd_len160_factors_2_4_4_5_wgs_250_tpt_10_dim3_sp_ip_CI_sbcc_twdbase8_3step_dirReg
	.globl	fft_rtc_fwd_len160_factors_2_4_4_5_wgs_250_tpt_10_dim3_sp_ip_CI_sbcc_twdbase8_3step_dirReg
	.p2align	8
	.type	fft_rtc_fwd_len160_factors_2_4_4_5_wgs_250_tpt_10_dim3_sp_ip_CI_sbcc_twdbase8_3step_dirReg,@function
fft_rtc_fwd_len160_factors_2_4_4_5_wgs_250_tpt_10_dim3_sp_ip_CI_sbcc_twdbase8_3step_dirReg: ; @fft_rtc_fwd_len160_factors_2_4_4_5_wgs_250_tpt_10_dim3_sp_ip_CI_sbcc_twdbase8_3step_dirReg
; %bb.0:
	s_load_dwordx4 s[0:3], s[4:5], 0x10
	s_mov_b32 s7, 0
	s_mov_b64 s[20:21], 0
	s_waitcnt lgkmcnt(0)
	s_load_dwordx2 s[10:11], s[0:1], 0x8
	s_waitcnt lgkmcnt(0)
	s_add_u32 s8, s10, -1
	s_addc_u32 s9, s11, -1
	s_add_u32 s12, 0, 0xd7093700
	s_addc_u32 s13, 0, 51
	s_mul_hi_u32 s15, s12, 0xffffffe7
	s_add_i32 s13, s13, 0xa3d7070
	s_sub_i32 s15, s15, s12
	s_mul_i32 s18, s13, 0xffffffe7
	s_mul_i32 s14, s12, 0xffffffe7
	s_add_i32 s15, s15, s18
	s_mul_hi_u32 s16, s13, s14
	s_mul_i32 s17, s13, s14
	s_mul_i32 s19, s12, s15
	s_mul_hi_u32 s14, s12, s14
	s_mul_hi_u32 s18, s12, s15
	s_add_u32 s14, s14, s19
	s_addc_u32 s18, 0, s18
	s_add_u32 s14, s14, s17
	s_mul_hi_u32 s19, s13, s15
	s_addc_u32 s14, s18, s16
	s_addc_u32 s16, s19, 0
	s_mul_i32 s15, s13, s15
	s_add_u32 s14, s14, s15
	v_mov_b32_e32 v1, s14
	s_addc_u32 s15, 0, s16
	v_add_co_u32_e32 v1, vcc, s12, v1
	s_cmp_lg_u64 vcc, 0
	s_addc_u32 s12, s13, s15
	v_readfirstlane_b32 s15, v1
	s_mul_i32 s14, s8, s12
	s_mul_hi_u32 s16, s8, s15
	s_mul_hi_u32 s13, s8, s12
	s_add_u32 s14, s16, s14
	s_addc_u32 s13, 0, s13
	s_mul_hi_u32 s17, s9, s15
	s_mul_i32 s15, s9, s15
	s_add_u32 s14, s14, s15
	s_mul_hi_u32 s16, s9, s12
	s_addc_u32 s13, s13, s17
	s_addc_u32 s14, s16, 0
	s_mul_i32 s12, s9, s12
	s_add_u32 s12, s13, s12
	s_addc_u32 s13, 0, s14
	s_add_u32 s14, s12, 1
	s_addc_u32 s15, s13, 0
	s_add_u32 s16, s12, 2
	s_mul_i32 s18, s13, 25
	s_mul_hi_u32 s19, s12, 25
	s_addc_u32 s17, s13, 0
	s_add_i32 s19, s19, s18
	s_mul_i32 s18, s12, 25
	v_mov_b32_e32 v1, s18
	v_sub_co_u32_e32 v1, vcc, s8, v1
	s_cmp_lg_u64 vcc, 0
	s_subb_u32 s8, s9, s19
	v_subrev_co_u32_e32 v2, vcc, 25, v1
	s_cmp_lg_u64 vcc, 0
	s_subb_u32 s9, s8, 0
	v_readfirstlane_b32 s18, v2
	s_cmp_gt_u32 s18, 24
	s_cselect_b32 s18, -1, 0
	s_cmp_eq_u32 s9, 0
	s_cselect_b32 s9, s18, -1
	s_cmp_lg_u32 s9, 0
	s_cselect_b32 s9, s16, s14
	s_cselect_b32 s14, s17, s15
	v_readfirstlane_b32 s15, v1
	s_cmp_gt_u32 s15, 24
	s_cselect_b32 s15, -1, 0
	s_cmp_eq_u32 s8, 0
	s_cselect_b32 s8, s15, -1
	s_cmp_lg_u32 s8, 0
	s_cselect_b32 s9, s9, s12
	s_cselect_b32 s8, s14, s13
	s_add_u32 s18, s9, 1
	s_addc_u32 s19, s8, 0
	v_mov_b32_e32 v1, s18
	v_mov_b32_e32 v2, s19
	v_cmp_lt_u64_e32 vcc, s[6:7], v[1:2]
	s_cbranch_vccnz .LBB0_2
; %bb.1:
	v_cvt_f32_u32_e32 v1, s18
	s_sub_i32 s8, 0, s18
	s_mov_b32 s21, s7
	v_rcp_iflag_f32_e32 v1, v1
	v_mul_f32_e32 v1, 0x4f7ffffe, v1
	v_cvt_u32_f32_e32 v1, v1
	v_readfirstlane_b32 s9, v1
	s_mul_i32 s8, s8, s9
	s_mul_hi_u32 s8, s9, s8
	s_add_i32 s9, s9, s8
	s_mul_hi_u32 s8, s6, s9
	s_mul_i32 s12, s8, s18
	s_sub_i32 s12, s6, s12
	s_add_i32 s9, s8, 1
	s_sub_i32 s13, s12, s18
	s_cmp_ge_u32 s12, s18
	s_cselect_b32 s8, s9, s8
	s_cselect_b32 s12, s13, s12
	s_add_i32 s9, s8, 1
	s_cmp_ge_u32 s12, s18
	s_cselect_b32 s20, s9, s8
.LBB0_2:
	s_load_dwordx2 s[8:9], s[0:1], 0x10
	s_load_dwordx2 s[12:13], s[2:3], 0x8
	s_mov_b64 s[0:1], s[20:21]
	s_waitcnt lgkmcnt(0)
	v_mov_b32_e32 v1, s8
	v_mov_b32_e32 v2, s9
	v_cmp_lt_u64_e32 vcc, s[20:21], v[1:2]
	s_cbranch_vccnz .LBB0_4
; %bb.3:
	v_cvt_f32_u32_e32 v1, s8
	s_sub_i32 s0, 0, s8
	v_rcp_iflag_f32_e32 v1, v1
	v_mul_f32_e32 v1, 0x4f7ffffe, v1
	v_cvt_u32_f32_e32 v1, v1
	v_readfirstlane_b32 s1, v1
	s_mul_i32 s0, s0, s1
	s_mul_hi_u32 s0, s1, s0
	s_add_i32 s1, s1, s0
	s_mul_hi_u32 s0, s20, s1
	s_mul_i32 s0, s0, s8
	s_sub_i32 s0, s20, s0
	s_sub_i32 s1, s0, s8
	s_cmp_ge_u32 s0, s8
	s_cselect_b32 s0, s1, s0
	s_sub_i32 s1, s0, s8
	s_cmp_ge_u32 s0, s8
	s_cselect_b32 s0, s1, s0
.LBB0_4:
	s_mul_i32 s1, s8, s19
	s_mul_hi_u32 s16, s8, s18
	s_add_i32 s1, s16, s1
	s_mul_i32 s9, s9, s18
	s_mul_i32 s16, s8, s18
	s_load_dwordx2 s[14:15], s[4:5], 0x50
	s_add_i32 s17, s1, s9
	s_load_dwordx2 s[8:9], s[2:3], 0x0
	s_load_dwordx2 s[22:23], s[2:3], 0x10
	v_mov_b32_e32 v1, s16
	v_mov_b32_e32 v2, s17
	v_cmp_lt_u64_e32 vcc, s[6:7], v[1:2]
	s_mov_b64 s[24:25], 0
	s_cbranch_vccnz .LBB0_6
; %bb.5:
	v_cvt_f32_u32_e32 v1, s16
	s_sub_i32 s1, 0, s16
	v_rcp_iflag_f32_e32 v1, v1
	v_mul_f32_e32 v1, 0x4f7ffffe, v1
	v_cvt_u32_f32_e32 v1, v1
	v_readfirstlane_b32 s7, v1
	s_mul_i32 s1, s1, s7
	s_mul_hi_u32 s1, s7, s1
	s_add_i32 s7, s7, s1
	s_mul_hi_u32 s1, s6, s7
	s_mul_i32 s17, s1, s16
	s_sub_i32 s17, s6, s17
	s_add_i32 s7, s1, 1
	s_sub_i32 s21, s17, s16
	s_cmp_ge_u32 s17, s16
	s_cselect_b32 s1, s7, s1
	s_cselect_b32 s17, s21, s17
	s_add_i32 s7, s1, 1
	s_cmp_ge_u32 s17, s16
	s_cselect_b32 s24, s7, s1
.LBB0_6:
	s_mul_i32 s1, s20, s19
	s_mul_hi_u32 s7, s20, s18
	s_add_i32 s7, s7, s1
	s_mul_i32 s1, s20, s18
	s_sub_u32 s1, s6, s1
	s_subb_u32 s6, 0, s7
	s_mul_i32 s6, s6, 25
	s_mul_hi_u32 s7, s1, 25
	s_add_i32 s18, s7, s6
	s_mul_i32 s1, s1, 25
	s_load_dwordx2 s[2:3], s[2:3], 0x18
	s_mul_i32 s6, s12, s18
	s_mul_hi_u32 s7, s12, s1
	s_add_i32 s6, s7, s6
	s_mul_i32 s7, s13, s1
	s_waitcnt lgkmcnt(0)
	s_mul_i32 s19, s23, s0
	s_mul_hi_u32 s20, s22, s0
	s_add_i32 s6, s6, s7
	s_mul_i32 s7, s12, s1
	s_add_i32 s20, s20, s19
	s_mul_i32 s0, s22, s0
	s_add_u32 s0, s0, s7
	v_mul_u32_u24_e32 v1, 0xa3e, v0
	s_addc_u32 s7, s20, s6
	s_mul_i32 s3, s3, s24
	s_mul_hi_u32 s6, s2, s24
	v_lshrrev_b32_e32 v83, 16, v1
	s_add_i32 s3, s6, s3
	s_mul_i32 s2, s2, s24
	v_mul_lo_u16_e32 v1, 25, v83
	s_add_u32 s6, s2, s0
	v_sub_u16_e32 v84, v0, v1
	s_addc_u32 s7, s3, s7
	v_mov_b32_e32 v1, s18
	v_add_co_u32_e32 v33, vcc, s1, v84
	s_load_dwordx2 s[16:17], s[4:5], 0x0
	v_addc_co_u32_e32 v34, vcc, 0, v1, vcc
	s_add_u32 s0, s1, 25
	v_mov_b32_e32 v1, s10
	s_addc_u32 s1, s18, 0
	v_mov_b32_e32 v2, s11
	v_cmp_gt_u64_e32 vcc, s[0:1], v[1:2]
	v_cmp_le_u64_e64 s[0:1], s[0:1], v[1:2]
	s_and_b64 vcc, exec, vcc
	v_add_u32_e32 v35, 10, v83
	v_add_u32_e32 v36, 20, v83
	v_add_u32_e32 v37, 30, v83
	v_add_u32_e32 v38, 40, v83
	s_cbranch_vccnz .LBB0_8
; %bb.7:
	v_mad_u64_u32 v[1:2], s[2:3], s12, v84, 0
	v_mad_u64_u32 v[3:4], s[2:3], s8, v83, 0
	v_or_b32_e32 v8, 0x50, v83
	v_add_u32_e32 v87, 10, v83
	v_mad_u64_u32 v[5:6], s[2:3], s13, v84, v[2:3]
	v_mov_b32_e32 v2, v4
	v_mad_u64_u32 v[6:7], s[2:3], s9, v83, v[2:3]
	s_lshl_b64 s[2:3], s[6:7], 3
	s_add_u32 s18, s14, s2
	s_addc_u32 s2, s15, s3
	v_mov_b32_e32 v2, v5
	v_mov_b32_e32 v4, v6
	v_mov_b32_e32 v7, s2
	v_mad_u64_u32 v[5:6], s[2:3], s8, v8, 0
	v_lshlrev_b64 v[1:2], 3, v[1:2]
	v_add_u32_e32 v86, 20, v83
	v_add_co_u32_e32 v9, vcc, s18, v1
	v_addc_co_u32_e32 v10, vcc, v7, v2, vcc
	v_lshlrev_b64 v[1:2], 3, v[3:4]
	v_mov_b32_e32 v3, v6
	v_mad_u64_u32 v[3:4], s[2:3], s9, v8, v[3:4]
	v_mad_u64_u32 v[7:8], s[2:3], s8, v87, 0
	v_add_co_u32_e32 v31, vcc, v9, v1
	v_mov_b32_e32 v6, v3
	v_mov_b32_e32 v3, v8
	v_addc_co_u32_e32 v32, vcc, v10, v2, vcc
	v_lshlrev_b64 v[1:2], 3, v[5:6]
	v_mad_u64_u32 v[3:4], s[2:3], s9, v87, v[3:4]
	v_add_u32_e32 v6, 0x5a, v83
	v_mad_u64_u32 v[4:5], s[2:3], s8, v6, 0
	v_mov_b32_e32 v8, v3
	v_add_co_u32_e32 v40, vcc, v9, v1
	v_mov_b32_e32 v3, v5
	v_mad_u64_u32 v[5:6], s[2:3], s9, v6, v[3:4]
	v_addc_co_u32_e32 v41, vcc, v10, v2, vcc
	v_lshlrev_b64 v[1:2], 3, v[7:8]
	v_mad_u64_u32 v[6:7], s[2:3], s8, v86, 0
	v_add_co_u32_e32 v42, vcc, v9, v1
	v_mov_b32_e32 v3, v7
	v_addc_co_u32_e32 v43, vcc, v10, v2, vcc
	v_lshlrev_b64 v[1:2], 3, v[4:5]
	v_mad_u64_u32 v[3:4], s[2:3], s9, v86, v[3:4]
	v_add_u32_e32 v8, 0x64, v83
	v_mad_u64_u32 v[4:5], s[2:3], s8, v8, 0
	v_add_co_u32_e32 v44, vcc, v9, v1
	v_mov_b32_e32 v7, v3
	v_mov_b32_e32 v3, v5
	v_addc_co_u32_e32 v45, vcc, v10, v2, vcc
	v_lshlrev_b64 v[1:2], 3, v[6:7]
	v_mad_u64_u32 v[5:6], s[2:3], s9, v8, v[3:4]
	v_add_u32_e32 v85, 30, v83
	v_mad_u64_u32 v[6:7], s[2:3], s8, v85, 0
	v_add_co_u32_e32 v46, vcc, v9, v1
	v_mov_b32_e32 v3, v7
	v_addc_co_u32_e32 v47, vcc, v10, v2, vcc
	v_lshlrev_b64 v[1:2], 3, v[4:5]
	v_mad_u64_u32 v[3:4], s[2:3], s9, v85, v[3:4]
	v_add_u32_e32 v8, 0x6e, v83
	v_mad_u64_u32 v[4:5], s[2:3], s8, v8, 0
	v_add_co_u32_e32 v48, vcc, v9, v1
	v_mov_b32_e32 v7, v3
	v_mov_b32_e32 v3, v5
	v_addc_co_u32_e32 v49, vcc, v10, v2, vcc
	v_lshlrev_b64 v[1:2], 3, v[6:7]
	v_mad_u64_u32 v[5:6], s[2:3], s9, v8, v[3:4]
	v_add_u32_e32 v39, 40, v83
	v_mad_u64_u32 v[6:7], s[2:3], s8, v39, 0
	v_add_co_u32_e32 v50, vcc, v9, v1
	v_mov_b32_e32 v3, v7
	v_addc_co_u32_e32 v51, vcc, v10, v2, vcc
	v_lshlrev_b64 v[1:2], 3, v[4:5]
	v_mad_u64_u32 v[3:4], s[2:3], s9, v39, v[3:4]
	v_add_u32_e32 v8, 0x78, v83
	v_mad_u64_u32 v[4:5], s[2:3], s8, v8, 0
	v_add_co_u32_e32 v52, vcc, v9, v1
	v_mov_b32_e32 v7, v3
	v_mov_b32_e32 v3, v5
	v_addc_co_u32_e32 v53, vcc, v10, v2, vcc
	v_lshlrev_b64 v[1:2], 3, v[6:7]
	v_mad_u64_u32 v[5:6], s[2:3], s9, v8, v[3:4]
	v_add_u32_e32 v8, 50, v83
	v_mad_u64_u32 v[6:7], s[2:3], s8, v8, 0
	v_add_co_u32_e32 v54, vcc, v9, v1
	v_mov_b32_e32 v3, v7
	v_addc_co_u32_e32 v55, vcc, v10, v2, vcc
	v_lshlrev_b64 v[1:2], 3, v[4:5]
	v_mad_u64_u32 v[3:4], s[2:3], s9, v8, v[3:4]
	v_add_u32_e32 v8, 0x82, v83
	v_mad_u64_u32 v[4:5], s[2:3], s8, v8, 0
	v_add_co_u32_e32 v56, vcc, v9, v1
	v_mov_b32_e32 v7, v3
	v_mov_b32_e32 v3, v5
	v_addc_co_u32_e32 v57, vcc, v10, v2, vcc
	v_lshlrev_b64 v[1:2], 3, v[6:7]
	v_mad_u64_u32 v[5:6], s[2:3], s9, v8, v[3:4]
	v_add_u32_e32 v8, 60, v83
	v_mad_u64_u32 v[6:7], s[2:3], s8, v8, 0
	v_add_co_u32_e32 v58, vcc, v9, v1
	v_mov_b32_e32 v3, v7
	v_addc_co_u32_e32 v59, vcc, v10, v2, vcc
	v_lshlrev_b64 v[1:2], 3, v[4:5]
	v_mad_u64_u32 v[3:4], s[2:3], s9, v8, v[3:4]
	v_add_u32_e32 v8, 0x8c, v83
	v_mad_u64_u32 v[4:5], s[2:3], s8, v8, 0
	v_add_co_u32_e32 v60, vcc, v9, v1
	v_mov_b32_e32 v7, v3
	v_mov_b32_e32 v3, v5
	v_addc_co_u32_e32 v61, vcc, v10, v2, vcc
	v_lshlrev_b64 v[1:2], 3, v[6:7]
	v_mad_u64_u32 v[5:6], s[2:3], s9, v8, v[3:4]
	v_add_u32_e32 v8, 0x46, v83
	v_mad_u64_u32 v[6:7], s[2:3], s8, v8, 0
	v_add_co_u32_e32 v62, vcc, v9, v1
	v_mov_b32_e32 v3, v7
	v_addc_co_u32_e32 v63, vcc, v10, v2, vcc
	v_lshlrev_b64 v[1:2], 3, v[4:5]
	v_mad_u64_u32 v[3:4], s[2:3], s9, v8, v[3:4]
	v_add_u32_e32 v8, 0x96, v83
	v_mad_u64_u32 v[4:5], s[2:3], s8, v8, 0
	v_add_co_u32_e32 v64, vcc, v9, v1
	v_mov_b32_e32 v7, v3
	v_mov_b32_e32 v3, v5
	v_addc_co_u32_e32 v65, vcc, v10, v2, vcc
	v_lshlrev_b64 v[1:2], 3, v[6:7]
	v_mad_u64_u32 v[5:6], s[2:3], s9, v8, v[3:4]
	v_add_co_u32_e32 v66, vcc, v9, v1
	v_addc_co_u32_e32 v67, vcc, v10, v2, vcc
	v_lshlrev_b64 v[1:2], 3, v[4:5]
	v_add_co_u32_e32 v68, vcc, v9, v1
	v_addc_co_u32_e32 v69, vcc, v10, v2, vcc
	global_load_dwordx2 v[5:6], v[31:32], off
	global_load_dwordx2 v[7:8], v[40:41], off
	;; [unrolled: 1-line block ×15, first 2 shown]
                                        ; kill: killed $vgpr54 killed $vgpr55
                                        ; kill: killed $vgpr48 killed $vgpr49
                                        ; kill: killed $vgpr58 killed $vgpr59
                                        ; kill: killed $vgpr50 killed $vgpr51
                                        ; kill: killed $vgpr44 killed $vgpr45
                                        ; kill: killed $vgpr62 killed $vgpr63
                                        ; kill: killed $vgpr46 killed $vgpr47
                                        ; kill: killed $vgpr40 killed $vgpr41
                                        ; kill: killed $vgpr66 killed $vgpr67
                                        ; kill: killed $vgpr56 killed $vgpr57
                                        ; kill: killed $vgpr42 killed $vgpr43
                                        ; kill: killed $vgpr60 killed $vgpr61
                                        ; kill: killed $vgpr52 killed $vgpr53
                                        ; kill: killed $vgpr31 killed $vgpr32
                                        ; kill: killed $vgpr64 killed $vgpr65
	global_load_dwordx2 v[31:32], v[68:69], off
	s_cbranch_execz .LBB0_9
	s_branch .LBB0_14
.LBB0_8:
                                        ; implicit-def: $vgpr1
                                        ; implicit-def: $vgpr9
                                        ; implicit-def: $vgpr17
                                        ; implicit-def: $vgpr31
                                        ; implicit-def: $vgpr25
                                        ; implicit-def: $vgpr29
                                        ; implicit-def: $vgpr27
                                        ; implicit-def: $vgpr19
                                        ; implicit-def: $vgpr87
                                        ; implicit-def: $vgpr86
                                        ; implicit-def: $vgpr85
                                        ; implicit-def: $vgpr39
                                        ; implicit-def: $vgpr23
                                        ; implicit-def: $vgpr21
                                        ; implicit-def: $vgpr11
                                        ; implicit-def: $vgpr15
                                        ; implicit-def: $vgpr13
                                        ; implicit-def: $vgpr3
                                        ; implicit-def: $vgpr7
                                        ; implicit-def: $vgpr5
.LBB0_9:
	v_cmp_le_u64_e32 vcc, s[10:11], v[33:34]
                                        ; implicit-def: $vgpr87
                                        ; implicit-def: $vgpr86
                                        ; implicit-def: $vgpr85
                                        ; implicit-def: $vgpr39
	s_and_saveexec_b64 s[2:3], vcc
	s_xor_b64 s[2:3], exec, s[2:3]
; %bb.10:
	v_add_u32_e32 v87, 10, v83
	v_add_u32_e32 v86, 20, v83
	;; [unrolled: 1-line block ×4, first 2 shown]
                                        ; implicit-def: $vgpr35
                                        ; implicit-def: $vgpr36
                                        ; implicit-def: $vgpr37
                                        ; implicit-def: $vgpr38
; %bb.11:
	s_or_saveexec_b64 s[2:3], s[2:3]
                                        ; implicit-def: $vgpr1
                                        ; implicit-def: $vgpr9
                                        ; implicit-def: $vgpr17
                                        ; implicit-def: $vgpr31
                                        ; implicit-def: $vgpr25
                                        ; implicit-def: $vgpr29
                                        ; implicit-def: $vgpr27
                                        ; implicit-def: $vgpr19
                                        ; implicit-def: $vgpr23
                                        ; implicit-def: $vgpr21
                                        ; implicit-def: $vgpr11
                                        ; implicit-def: $vgpr15
                                        ; implicit-def: $vgpr13
                                        ; implicit-def: $vgpr3
                                        ; implicit-def: $vgpr7
                                        ; implicit-def: $vgpr5
	s_xor_b64 exec, exec, s[2:3]
	s_cbranch_execz .LBB0_13
; %bb.12:
	s_waitcnt vmcnt(12)
	v_mad_u64_u32 v[1:2], s[18:19], s12, v84, 0
	v_mad_u64_u32 v[3:4], s[18:19], s8, v83, 0
	v_or_b32_e32 v8, 0x50, v83
	s_waitcnt vmcnt(7)
	v_add_u32_e32 v22, 0x64, v83
	v_mad_u64_u32 v[5:6], s[18:19], s13, v84, v[2:3]
	v_mov_b32_e32 v2, v4
	v_mad_u64_u32 v[6:7], s[18:19], s9, v83, v[2:3]
	s_lshl_b64 s[18:19], s[6:7], 3
	s_add_u32 s20, s14, s18
	s_addc_u32 s18, s15, s19
	v_mov_b32_e32 v2, v5
	v_mov_b32_e32 v4, v6
	;; [unrolled: 1-line block ×3, first 2 shown]
	v_mad_u64_u32 v[5:6], s[18:19], s8, v8, 0
	v_lshlrev_b64 v[1:2], 3, v[1:2]
	v_mad_u64_u32 v[15:16], s[18:19], s8, v36, 0
	v_add_co_u32_e32 v45, vcc, s20, v1
	v_addc_co_u32_e32 v46, vcc, v7, v2, vcc
	v_lshlrev_b64 v[1:2], 3, v[3:4]
	v_mov_b32_e32 v3, v6
	v_mad_u64_u32 v[3:4], s[18:19], s9, v8, v[3:4]
	v_mad_u64_u32 v[7:8], s[18:19], s8, v35, 0
	v_add_co_u32_e32 v9, vcc, v45, v1
	v_mov_b32_e32 v6, v3
	v_mov_b32_e32 v3, v8
	v_addc_co_u32_e32 v10, vcc, v46, v2, vcc
	v_lshlrev_b64 v[1:2], 3, v[5:6]
	v_mad_u64_u32 v[3:4], s[18:19], s9, v35, v[3:4]
	v_add_u32_e32 v6, 0x5a, v83
	v_mad_u64_u32 v[4:5], s[18:19], s8, v6, 0
	v_mov_b32_e32 v8, v3
	v_add_co_u32_e32 v11, vcc, v45, v1
	v_mov_b32_e32 v3, v5
	v_mad_u64_u32 v[5:6], s[18:19], s9, v6, v[3:4]
	v_addc_co_u32_e32 v12, vcc, v46, v2, vcc
	v_lshlrev_b64 v[1:2], 3, v[7:8]
	s_waitcnt vmcnt(6)
	v_mad_u64_u32 v[23:24], s[18:19], s8, v38, 0
	v_add_co_u32_e32 v13, vcc, v45, v1
	v_addc_co_u32_e32 v14, vcc, v46, v2, vcc
	v_lshlrev_b64 v[1:2], 3, v[4:5]
	s_waitcnt vmcnt(2)
	v_add_u32_e32 v30, 0x78, v83
	v_add_co_u32_e32 v17, vcc, v45, v1
	v_mov_b32_e32 v1, v16
	v_mad_u64_u32 v[19:20], s[18:19], s9, v36, v[1:2]
	v_mad_u64_u32 v[20:21], s[18:19], s8, v22, 0
	v_addc_co_u32_e32 v18, vcc, v46, v2, vcc
	global_load_dwordx2 v[5:6], v[9:10], off
	global_load_dwordx2 v[7:8], v[11:12], off
	;; [unrolled: 1-line block ×4, first 2 shown]
	v_mov_b32_e32 v11, v21
	v_mad_u64_u32 v[11:12], s[18:19], s9, v22, v[11:12]
	v_mad_u64_u32 v[12:13], s[18:19], s8, v37, 0
	v_mov_b32_e32 v16, v19
	v_mov_b32_e32 v21, v11
	;; [unrolled: 1-line block ×3, first 2 shown]
	v_lshlrev_b64 v[9:10], 3, v[15:16]
	v_mad_u64_u32 v[13:14], s[18:19], s9, v37, v[11:12]
	v_add_u32_e32 v16, 0x6e, v83
	v_mad_u64_u32 v[14:15], s[18:19], s8, v16, 0
	v_add_co_u32_e32 v17, vcc, v45, v9
	v_addc_co_u32_e32 v18, vcc, v46, v10, vcc
	v_lshlrev_b64 v[9:10], 3, v[20:21]
	v_mov_b32_e32 v11, v15
	v_add_co_u32_e32 v19, vcc, v45, v9
	v_addc_co_u32_e32 v20, vcc, v46, v10, vcc
	v_lshlrev_b64 v[9:10], 3, v[12:13]
	v_mad_u64_u32 v[11:12], s[18:19], s9, v16, v[11:12]
	v_add_co_u32_e32 v21, vcc, v45, v9
	v_mov_b32_e32 v15, v11
	v_addc_co_u32_e32 v22, vcc, v46, v10, vcc
	v_lshlrev_b64 v[9:10], 3, v[14:15]
	v_add_u32_e32 v44, 0x8c, v83
	s_waitcnt vmcnt(5)
	v_add_co_u32_e32 v25, vcc, v45, v9
	v_mov_b32_e32 v9, v24
	v_mad_u64_u32 v[27:28], s[18:19], s9, v38, v[9:10]
	v_mad_u64_u32 v[28:29], s[18:19], s8, v30, 0
	v_addc_co_u32_e32 v26, vcc, v46, v10, vcc
	global_load_dwordx2 v[13:14], v[17:18], off
	global_load_dwordx2 v[15:16], v[19:20], off
	;; [unrolled: 1-line block ×4, first 2 shown]
	v_mov_b32_e32 v19, v29
	v_mad_u64_u32 v[19:20], s[18:19], s9, v30, v[19:20]
	v_add_u32_e32 v22, 50, v83
	v_mad_u64_u32 v[20:21], s[18:19], s8, v22, 0
	v_mov_b32_e32 v24, v27
	v_mov_b32_e32 v29, v19
	;; [unrolled: 1-line block ×3, first 2 shown]
	v_lshlrev_b64 v[17:18], 3, v[23:24]
	v_mad_u64_u32 v[21:22], s[18:19], s9, v22, v[19:20]
	v_add_u32_e32 v24, 0x82, v83
	v_mad_u64_u32 v[22:23], s[18:19], s8, v24, 0
	v_add_co_u32_e32 v25, vcc, v45, v17
	v_addc_co_u32_e32 v26, vcc, v46, v18, vcc
	v_lshlrev_b64 v[17:18], 3, v[28:29]
	v_mov_b32_e32 v19, v23
	v_add_co_u32_e32 v27, vcc, v45, v17
	v_addc_co_u32_e32 v28, vcc, v46, v18, vcc
	v_lshlrev_b64 v[17:18], 3, v[20:21]
	v_mad_u64_u32 v[19:20], s[18:19], s9, v24, v[19:20]
	v_add_co_u32_e32 v29, vcc, v45, v17
	v_mov_b32_e32 v23, v19
	v_add_u32_e32 v19, 60, v83
	s_waitcnt vmcnt(8)
	v_mad_u64_u32 v[31:32], s[18:19], s8, v19, 0
	v_addc_co_u32_e32 v30, vcc, v46, v18, vcc
	v_lshlrev_b64 v[17:18], 3, v[22:23]
	v_mov_b32_e32 v87, v35
	v_add_co_u32_e32 v39, vcc, v45, v17
	v_mov_b32_e32 v17, v32
	v_mad_u64_u32 v[41:42], s[18:19], s9, v19, v[17:18]
	v_mad_u64_u32 v[42:43], s[18:19], s8, v44, 0
	v_addc_co_u32_e32 v40, vcc, v46, v18, vcc
	global_load_dwordx2 v[21:22], v[25:26], off
	global_load_dwordx2 v[23:24], v[27:28], off
	;; [unrolled: 1-line block ×4, first 2 shown]
	v_mov_b32_e32 v27, v43
	v_mad_u64_u32 v[27:28], s[18:19], s9, v44, v[27:28]
	v_add_u32_e32 v30, 0x46, v83
	v_mad_u64_u32 v[28:29], s[18:19], s8, v30, 0
	v_mov_b32_e32 v32, v41
	v_mov_b32_e32 v43, v27
	;; [unrolled: 1-line block ×3, first 2 shown]
	v_lshlrev_b64 v[25:26], 3, v[31:32]
	v_mad_u64_u32 v[29:30], s[18:19], s9, v30, v[27:28]
	v_add_u32_e32 v32, 0x96, v83
	v_mad_u64_u32 v[30:31], s[18:19], s8, v32, 0
	v_add_co_u32_e32 v39, vcc, v45, v25
	v_addc_co_u32_e32 v40, vcc, v46, v26, vcc
	v_lshlrev_b64 v[25:26], 3, v[42:43]
	v_mov_b32_e32 v27, v31
	v_add_co_u32_e32 v41, vcc, v45, v25
	v_addc_co_u32_e32 v42, vcc, v46, v26, vcc
	v_lshlrev_b64 v[25:26], 3, v[28:29]
	v_mad_u64_u32 v[27:28], s[18:19], s9, v32, v[27:28]
	v_add_co_u32_e32 v43, vcc, v45, v25
	v_mov_b32_e32 v31, v27
	v_addc_co_u32_e32 v44, vcc, v46, v26, vcc
	v_lshlrev_b64 v[25:26], 3, v[30:31]
	v_mov_b32_e32 v86, v36
	v_add_co_u32_e32 v45, vcc, v45, v25
	v_addc_co_u32_e32 v46, vcc, v46, v26, vcc
	global_load_dwordx2 v[27:28], v[39:40], off
	global_load_dwordx2 v[29:30], v[41:42], off
	global_load_dwordx2 v[25:26], v[43:44], off
	global_load_dwordx2 v[31:32], v[45:46], off
	v_mov_b32_e32 v85, v37
	v_mov_b32_e32 v39, v38
.LBB0_13:
	s_or_b64 exec, exec, s[2:3]
.LBB0_14:
	s_waitcnt vmcnt(12)
	v_sub_f32_e32 v35, v3, v1
	v_sub_f32_e32 v36, v4, v2
	;; [unrolled: 1-line block ×4, first 2 shown]
	v_fma_f32 v2, v3, 2.0, -v35
	v_fma_f32 v3, v4, 2.0, -v36
	v_mul_u32_u24_e32 v4, 0x190, v83
	v_lshlrev_b32_e32 v1, 3, v84
	v_fma_f32 v5, v5, 2.0, -v7
	v_fma_f32 v6, v6, 2.0, -v8
	v_add3_u32 v4, 0, v4, v1
	ds_write2_b64 v4, v[5:6], v[7:8] offset1:25
	v_mul_i32_i24_e32 v5, 0x190, v87
	v_add3_u32 v5, 0, v5, v1
	s_waitcnt vmcnt(10)
	v_sub_f32_e32 v15, v13, v15
	v_sub_f32_e32 v16, v14, v16
	ds_write2_b64 v5, v[2:3], v[35:36] offset1:25
	v_mul_i32_i24_e32 v2, 0x190, v86
	v_fma_f32 v13, v13, 2.0, -v15
	v_fma_f32 v14, v14, 2.0, -v16
	v_add3_u32 v2, 0, v2, v1
	s_waitcnt vmcnt(8)
	v_sub_f32_e32 v9, v11, v9
	v_sub_f32_e32 v10, v12, v10
	ds_write2_b64 v2, v[13:14], v[15:16] offset1:25
	v_mul_i32_i24_e32 v2, 0x190, v85
	v_fma_f32 v11, v11, 2.0, -v9
	v_fma_f32 v12, v12, 2.0, -v10
	v_add3_u32 v2, 0, v2, v1
	s_waitcnt vmcnt(6)
	v_sub_f32_e32 v23, v21, v23
	v_sub_f32_e32 v24, v22, v24
	s_waitcnt vmcnt(4)
	v_sub_f32_e32 v17, v19, v17
	v_sub_f32_e32 v18, v20, v18
	ds_write2_b64 v2, v[11:12], v[9:10] offset1:25
	v_mul_i32_i24_e32 v2, 0x190, v39
	v_fma_f32 v21, v21, 2.0, -v23
	v_fma_f32 v22, v22, 2.0, -v24
	v_fma_f32 v19, v19, 2.0, -v17
	v_fma_f32 v20, v20, 2.0, -v18
	s_waitcnt vmcnt(2)
	v_sub_f32_e32 v29, v27, v29
	v_sub_f32_e32 v30, v28, v30
	v_add3_u32 v6, 0, v2, v1
	v_add_u32_e32 v2, 0x4800, v4
	v_fma_f32 v27, v27, 2.0, -v29
	v_fma_f32 v28, v28, 2.0, -v30
	s_waitcnt vmcnt(0)
	v_sub_f32_e32 v31, v25, v31
	v_sub_f32_e32 v32, v26, v32
	ds_write2_b64 v6, v[21:22], v[23:24] offset1:25
	ds_write2_b64 v2, v[19:20], v[17:18] offset0:196 offset1:221
	v_add_u32_e32 v2, 0x5800, v4
	v_fma_f32 v25, v25, 2.0, -v31
	v_fma_f32 v26, v26, 2.0, -v32
	ds_write2_b64 v2, v[27:28], v[29:30] offset0:184 offset1:209
	v_add_u32_e32 v2, 0x6800, v4
	v_and_b32_e32 v16, 1, v83
	ds_write2_b64 v2, v[25:26], v[31:32] offset0:172 offset1:197
	v_mul_u32_u24_e32 v2, 3, v16
	v_lshlrev_b32_e32 v7, 3, v2
	s_waitcnt lgkmcnt(0)
	s_barrier
	global_load_dwordx4 v[2:5], v7, s[16:17]
	global_load_dwordx2 v[14:15], v7, s[16:17] offset:16
	v_mul_u32_u24_e32 v7, 0xc8, v83
	v_add3_u32 v17, 0, v7, v1
	v_mul_i32_i24_e32 v18, 0xc8, v87
	v_add3_u32 v19, 0, v18, v1
	v_add_u32_e32 v18, 0x2400, v17
	s_movk_i32 s2, 0xff38
	ds_read2_b32 v[37:38], v18 offset0:196 offset1:197
	v_mul_i32_i24_e32 v18, 0xc8, v86
	v_mad_i32_i24 v47, v39, s2, v6
	v_add_u32_e32 v6, 0x3e80, v17
	v_add_u32_e32 v48, 0x5dc0, v17
	v_add3_u32 v20, 0, v18, v1
	v_add_u32_e32 v18, 0x2ec0, v17
	v_add_u32_e32 v49, 0x4e00, v17
	ds_read_b64 v[35:36], v17
	ds_read2_b64 v[6:9], v6 offset1:250
	ds_read2_b64 v[10:13], v48 offset1:250
	ds_read_b64 v[39:40], v20
	ds_read2_b64 v[21:24], v18 offset0:4 offset1:254
	ds_read2_b64 v[25:28], v49 offset0:4 offset1:254
	v_add_u32_e32 v50, 0x6d40, v17
	ds_read_b64 v[41:42], v19
	ds_read_b64 v[43:44], v47
	ds_read2_b64 v[29:32], v50 offset0:4 offset1:254
	v_mul_i32_i24_e32 v18, 0xc8, v85
	v_add3_u32 v18, 0, v18, v1
	ds_read_b64 v[45:46], v18
	v_lshlrev_b32_e32 v89, 2, v87
	s_movk_i32 s2, 0x7ff8
	s_waitcnt vmcnt(0) lgkmcnt(0)
	s_barrier
	v_lshlrev_b32_e32 v88, 2, v86
	v_mul_f32_e32 v51, v3, v44
	v_fma_f32 v51, v2, v43, -v51
	v_mul_f32_e32 v43, v3, v43
	v_fmac_f32_e32 v43, v2, v44
	v_mul_f32_e32 v44, v5, v7
	v_fma_f32 v44, v4, v6, -v44
	v_mul_f32_e32 v6, v5, v6
	v_fmac_f32_e32 v6, v4, v7
	;; [unrolled: 4-line block ×4, first 2 shown]
	v_mul_f32_e32 v38, v9, v5
	v_fma_f32 v38, v8, v4, -v38
	v_mul_f32_e32 v52, v8, v5
	v_mul_f32_e32 v8, v13, v15
	v_fma_f32 v53, v12, v14, -v8
	v_mul_f32_e32 v8, v22, v3
	v_fma_f32 v54, v21, v2, -v8
	v_mul_f32_e32 v8, v26, v5
	v_mul_f32_e32 v21, v21, v3
	v_fma_f32 v55, v25, v4, -v8
	v_mul_f32_e32 v8, v24, v3
	v_mul_f32_e32 v57, v23, v3
	;; [unrolled: 1-line block ×3, first 2 shown]
	v_fmac_f32_e32 v21, v22, v2
	v_fma_f32 v56, v23, v2, -v8
	v_fmac_f32_e32 v57, v24, v2
	v_mul_f32_e32 v2, v30, v15
	v_fmac_f32_e32 v52, v9, v4
	v_fmac_f32_e32 v12, v13, v14
	v_mul_f32_e32 v25, v25, v5
	v_fma_f32 v24, v29, v14, -v2
	v_mul_f32_e32 v2, v28, v5
	v_fmac_f32_e32 v25, v26, v4
	v_mul_f32_e32 v26, v29, v15
	v_fma_f32 v58, v27, v4, -v2
	v_mul_f32_e32 v59, v27, v5
	v_mul_f32_e32 v2, v32, v15
	;; [unrolled: 1-line block ×3, first 2 shown]
	v_sub_f32_e32 v22, v41, v38
	v_sub_f32_e32 v23, v42, v52
	;; [unrolled: 1-line block ×4, first 2 shown]
	v_fmac_f32_e32 v26, v30, v14
	v_fma_f32 v60, v31, v14, -v2
	v_fmac_f32_e32 v61, v32, v14
	v_sub_f32_e32 v9, v36, v6
	v_sub_f32_e32 v6, v43, v10
	v_fma_f32 v13, v41, 2.0, -v22
	v_fma_f32 v14, v42, 2.0, -v23
	;; [unrolled: 1-line block ×4, first 2 shown]
	v_sub_f32_e32 v10, v13, v10
	v_sub_f32_e32 v11, v14, v11
	;; [unrolled: 1-line block ×6, first 2 shown]
	v_fmac_f32_e32 v59, v28, v4
	v_fma_f32 v12, v13, 2.0, -v10
	v_fma_f32 v13, v14, 2.0, -v11
	v_sub_f32_e32 v14, v22, v27
	v_fma_f32 v27, v39, 2.0, -v30
	v_fma_f32 v28, v40, 2.0, -v31
	;; [unrolled: 1-line block ×4, first 2 shown]
	v_sub_f32_e32 v24, v27, v24
	v_sub_f32_e32 v25, v28, v21
	;; [unrolled: 1-line block ×5, first 2 shown]
	v_fma_f32 v5, v36, 2.0, -v9
	v_fma_f32 v26, v27, 2.0, -v24
	;; [unrolled: 1-line block ×3, first 2 shown]
	v_sub_f32_e32 v28, v30, v32
	v_sub_f32_e32 v32, v46, v59
	;; [unrolled: 1-line block ×3, first 2 shown]
	v_fma_f32 v36, v57, 2.0, -v39
	v_sub_f32_e32 v39, v21, v39
	v_fma_f32 v4, v35, 2.0, -v8
	v_sub_f32_e32 v7, v51, v7
	v_fma_f32 v37, v45, 2.0, -v21
	v_fma_f32 v35, v56, 2.0, -v40
	v_add_f32_e32 v40, v32, v40
	v_fma_f32 v41, v21, 2.0, -v39
	v_lshlrev_b32_e32 v21, 2, v83
	v_fma_f32 v2, v51, 2.0, -v7
	v_fma_f32 v3, v43, 2.0, -v6
	;; [unrolled: 1-line block ×4, first 2 shown]
	v_and_or_b32 v32, v21, 56, v16
	v_sub_f32_e32 v2, v4, v2
	v_sub_f32_e32 v3, v5, v3
	;; [unrolled: 1-line block ×3, first 2 shown]
	v_add_f32_e32 v7, v9, v7
	v_mul_u32_u24_e32 v32, 0xc8, v32
	v_fma_f32 v4, v4, 2.0, -v2
	v_fma_f32 v5, v5, 2.0, -v3
	v_fma_f32 v8, v8, 2.0, -v6
	v_fma_f32 v9, v9, 2.0, -v7
	v_add3_u32 v32, 0, v32, v1
	ds_write2_b64 v32, v[4:5], v[8:9] offset1:50
	ds_write2_b64 v32, v[2:3], v[6:7] offset0:100 offset1:150
	v_and_or_b32 v2, v89, s2, v16
	v_add_f32_e32 v15, v23, v15
	v_mul_u32_u24_e32 v2, 0xc8, v2
	v_fma_f32 v22, v22, 2.0, -v14
	v_fma_f32 v23, v23, 2.0, -v15
	v_add3_u32 v2, 0, v2, v1
	ds_write2_b64 v2, v[12:13], v[22:23] offset1:50
	ds_write2_b64 v2, v[10:11], v[14:15] offset0:100 offset1:150
	v_and_or_b32 v2, v88, s2, v16
	v_add_f32_e32 v29, v31, v29
	v_mul_u32_u24_e32 v2, 0xc8, v2
	v_fma_f32 v30, v30, 2.0, -v28
	v_fma_f32 v31, v31, 2.0, -v29
	v_add3_u32 v2, 0, v2, v1
	v_lshlrev_b32_e32 v59, 2, v85
	ds_write2_b64 v2, v[26:27], v[30:31] offset1:50
	ds_write2_b64 v2, v[24:25], v[28:29] offset0:100 offset1:150
	v_and_or_b32 v2, v59, s2, v16
	v_sub_f32_e32 v35, v37, v35
	v_sub_f32_e32 v36, v38, v36
	v_mul_u32_u24_e32 v2, 0xc8, v2
	v_fma_f32 v37, v37, 2.0, -v35
	v_fma_f32 v38, v38, 2.0, -v36
	v_add3_u32 v2, 0, v2, v1
	v_and_b32_e32 v16, 7, v83
	ds_write2_b64 v2, v[37:38], v[41:42] offset1:50
	ds_write2_b64 v2, v[35:36], v[39:40] offset0:100 offset1:150
	v_mul_u32_u24_e32 v2, 3, v16
	v_lshlrev_b32_e32 v26, 3, v2
	s_waitcnt lgkmcnt(0)
	s_barrier
	global_load_dwordx4 v[2:5], v26, s[16:17] offset:48
	v_and_b32_e32 v32, 7, v85
	v_mul_u32_u24_e32 v6, 3, v32
	v_lshlrev_b32_e32 v27, 3, v6
	global_load_dwordx4 v[6:9], v27, s[16:17] offset:48
	v_and_b32_e32 v45, 7, v86
	v_mul_u32_u24_e32 v10, 3, v45
	v_lshlrev_b32_e32 v28, 3, v10
	;; [unrolled: 4-line block ×3, first 2 shown]
	global_load_dwordx4 v[22:25], v29, s[16:17] offset:48
	global_load_dwordx2 v[14:15], v26, s[16:17] offset:64
	global_load_dwordx2 v[30:31], v29, s[16:17] offset:64
	;; [unrolled: 1-line block ×4, first 2 shown]
	v_add_u32_e32 v26, 0x36a0, v17
	ds_read_b64 v[39:40], v47
	ds_read2_b64 v[26:29], v26 offset0:2 offset1:252
	ds_read_b64 v[41:42], v19
	v_add_u32_e32 v47, 0x2700, v17
	ds_read_b64 v[43:44], v18
	v_and_or_b32 v16, v21, 32, v16
	v_mul_u32_u24_e32 v16, 0xc8, v16
	v_add3_u32 v16, 0, v16, v1
	s_movk_i32 s2, 0x7fe0
	s_waitcnt vmcnt(7) lgkmcnt(3)
	v_mul_f32_e32 v51, v3, v40
	v_fma_f32 v51, v2, v39, -v51
	v_mul_f32_e32 v39, v3, v39
	v_fmac_f32_e32 v39, v2, v40
	s_waitcnt lgkmcnt(2)
	v_mul_f32_e32 v2, v5, v29
	v_fma_f32 v40, v4, v28, -v2
	v_mul_f32_e32 v28, v5, v28
	v_fmac_f32_e32 v28, v4, v29
	ds_read2_b64 v[2:5], v49 offset0:4 offset1:254
	s_waitcnt vmcnt(6)
	v_mul_f32_e32 v29, v27, v7
	v_mul_f32_e32 v52, v26, v7
	v_fma_f32 v49, v26, v6, -v29
	v_fmac_f32_e32 v52, v27, v6
	s_waitcnt lgkmcnt(0)
	v_mul_f32_e32 v6, v5, v9
	v_mul_f32_e32 v54, v4, v9
	v_fma_f32 v53, v4, v8, -v6
	v_fmac_f32_e32 v54, v5, v8
	ds_read2_b64 v[4:7], v47 offset0:2 offset1:252
	s_waitcnt vmcnt(5)
	v_mul_f32_e32 v8, v3, v13
	v_mul_f32_e32 v27, v2, v13
	v_fma_f32 v26, v2, v12, -v8
	v_fmac_f32_e32 v27, v3, v12
	v_add_u32_e32 v2, 0x4400, v17
	s_waitcnt lgkmcnt(0)
	v_mul_f32_e32 v3, v7, v11
	v_mul_f32_e32 v47, v6, v11
	v_fma_f32 v29, v6, v10, -v3
	v_fmac_f32_e32 v47, v7, v10
	ds_read2_b32 v[6:7], v2 offset0:148 offset1:149
	s_waitcnt vmcnt(4)
	v_mul_f32_e32 v2, v23, v5
	v_mul_f32_e32 v23, v23, v4
	v_fma_f32 v55, v22, v4, -v2
	v_fmac_f32_e32 v23, v22, v5
	ds_read2_b64 v[2:5], v48 offset1:250
	s_waitcnt lgkmcnt(1)
	v_mul_f32_e32 v8, v7, v25
	v_mul_f32_e32 v25, v25, v6
	v_fma_f32 v22, v24, v6, -v8
	v_fmac_f32_e32 v25, v7, v24
	ds_read2_b64 v[6:9], v50 offset0:4 offset1:254
	s_waitcnt vmcnt(3) lgkmcnt(1)
	v_mul_f32_e32 v10, v15, v3
	v_fma_f32 v10, v14, v2, -v10
	v_mul_f32_e32 v11, v15, v2
	s_waitcnt vmcnt(2)
	v_mul_f32_e32 v2, v5, v31
	v_fmac_f32_e32 v11, v14, v3
	v_fma_f32 v14, v4, v30, -v2
	ds_read_b64 v[2:3], v20
	ds_read_b64 v[12:13], v17
	v_mul_f32_e32 v15, v4, v31
	s_waitcnt vmcnt(1) lgkmcnt(2)
	v_mul_f32_e32 v4, v7, v36
	v_fmac_f32_e32 v15, v5, v30
	v_fma_f32 v30, v6, v35, -v4
	v_mul_f32_e32 v31, v6, v36
	s_waitcnt vmcnt(0)
	v_mul_f32_e32 v4, v9, v38
	v_mul_f32_e32 v36, v8, v38
	v_fmac_f32_e32 v31, v7, v35
	v_fma_f32 v35, v8, v37, -v4
	v_fmac_f32_e32 v36, v9, v37
	s_waitcnt lgkmcnt(0)
	v_sub_f32_e32 v24, v12, v40
	v_sub_f32_e32 v28, v13, v28
	;; [unrolled: 1-line block ×4, first 2 shown]
	v_fma_f32 v6, v12, 2.0, -v24
	v_fma_f32 v7, v13, 2.0, -v28
	;; [unrolled: 1-line block ×4, first 2 shown]
	v_sub_f32_e32 v4, v6, v4
	v_sub_f32_e32 v5, v7, v5
	;; [unrolled: 1-line block ×3, first 2 shown]
	v_add_f32_e32 v9, v28, v9
	v_fma_f32 v6, v6, 2.0, -v4
	v_fma_f32 v7, v7, 2.0, -v5
	;; [unrolled: 1-line block ×4, first 2 shown]
	v_sub_f32_e32 v24, v41, v22
	v_sub_f32_e32 v37, v55, v14
	;; [unrolled: 1-line block ×3, first 2 shown]
	v_fma_f32 v22, v41, 2.0, -v24
	v_sub_f32_e32 v38, v23, v15
	v_fma_f32 v12, v55, 2.0, -v37
	s_barrier
	ds_write2_b64 v16, v[6:7], v[10:11] offset1:200
	v_add_u32_e32 v6, 0xc00, v16
	v_fma_f32 v28, v42, 2.0, -v25
	v_fma_f32 v13, v23, 2.0, -v38
	v_sub_f32_e32 v12, v22, v12
	ds_write2_b64 v6, v[4:5], v[8:9] offset0:16 offset1:216
	v_and_or_b32 v4, v89, s2, v46
	v_sub_f32_e32 v13, v28, v13
	v_fma_f32 v14, v22, 2.0, -v12
	v_sub_f32_e32 v22, v24, v38
	v_add_f32_e32 v23, v25, v37
	v_mul_u32_u24_e32 v4, 0xc8, v4
	v_fma_f32 v15, v28, 2.0, -v13
	v_fma_f32 v24, v24, 2.0, -v22
	;; [unrolled: 1-line block ×3, first 2 shown]
	v_add3_u32 v4, 0, v4, v1
	v_sub_f32_e32 v37, v2, v26
	v_sub_f32_e32 v38, v3, v27
	;; [unrolled: 1-line block ×4, first 2 shown]
	ds_write2_b64 v4, v[14:15], v[24:25] offset1:200
	v_add_u32_e32 v4, 0xc00, v4
	v_fma_f32 v26, v2, 2.0, -v37
	v_fma_f32 v27, v3, 2.0, -v38
	;; [unrolled: 1-line block ×4, first 2 shown]
	ds_write2_b64 v4, v[12:13], v[22:23] offset0:16 offset1:216
	v_and_or_b32 v4, v88, s2, v45
	v_sub_f32_e32 v2, v26, v2
	v_sub_f32_e32 v3, v27, v3
	v_sub_f32_e32 v28, v37, v28
	v_add_f32_e32 v29, v38, v30
	v_mul_u32_u24_e32 v4, 0xc8, v4
	v_fma_f32 v26, v26, 2.0, -v2
	v_fma_f32 v27, v27, 2.0, -v3
	;; [unrolled: 1-line block ×4, first 2 shown]
	v_sub_f32_e32 v41, v43, v53
	v_add3_u32 v4, 0, v4, v1
	v_sub_f32_e32 v42, v44, v54
	v_fma_f32 v39, v43, 2.0, -v41
	v_sub_f32_e32 v43, v49, v35
	v_sub_f32_e32 v35, v52, v36
	ds_write2_b64 v4, v[26:27], v[30:31] offset1:200
	v_add_u32_e32 v4, 0xc00, v4
	v_fma_f32 v40, v44, 2.0, -v42
	v_fma_f32 v36, v49, 2.0, -v43
	;; [unrolled: 1-line block ×3, first 2 shown]
	ds_write2_b64 v4, v[2:3], v[28:29] offset0:16 offset1:216
	v_and_or_b32 v2, v59, s2, v32
	v_sub_f32_e32 v37, v39, v36
	v_sub_f32_e32 v38, v40, v38
	;; [unrolled: 1-line block ×3, first 2 shown]
	v_add_f32_e32 v36, v42, v43
	v_mul_u32_u24_e32 v2, 0xc8, v2
	v_fma_f32 v39, v39, 2.0, -v37
	v_fma_f32 v40, v40, 2.0, -v38
	;; [unrolled: 1-line block ×4, first 2 shown]
	v_add3_u32 v1, 0, v2, v1
	ds_write2_b64 v1, v[39:40], v[41:42] offset1:200
	v_add_u32_e32 v1, 0xc00, v1
	ds_write2_b64 v1, v[37:38], v[35:36] offset0:16 offset1:216
	v_add_u32_e32 v1, 0x1900, v17
	s_waitcnt lgkmcnt(0)
	s_barrier
	ds_read2_b64 v[9:12], v1 offset1:250
	v_add_u32_e32 v1, 0x3200, v17
	ds_read2_b64 v[13:16], v1 offset1:250
	v_add_u32_e32 v1, 0x4b00, v17
	v_add_u32_e32 v5, 0x6400, v17
	ds_read2_b64 v[1:4], v1 offset1:250
	ds_read2_b64 v[5:8], v5 offset1:250
	ds_read_b64 v[49:50], v17
	ds_read_b64 v[57:58], v17 offset:10400
	ds_read_b64 v[53:54], v17 offset:16800
	;; [unrolled: 1-line block ×3, first 2 shown]
	ds_read_b64 v[45:46], v20
	ds_read_b64 v[47:48], v19
	ds_read_b64 v[55:56], v17 offset:29600
	v_cmp_gt_u32_e64 s[2:3], 50, v0
                                        ; implicit-def: $vgpr38
                                        ; implicit-def: $vgpr40
                                        ; implicit-def: $vgpr42
                                        ; implicit-def: $vgpr44
	s_and_saveexec_b64 s[18:19], s[2:3]
	s_cbranch_execz .LBB0_16
; %bb.15:
	ds_read_b64 v[35:36], v18
	ds_read_b64 v[43:44], v17 offset:12400
	ds_read_b64 v[41:42], v17 offset:18800
	;; [unrolled: 1-line block ×4, first 2 shown]
.LBB0_16:
	s_or_b64 exec, exec, s[18:19]
	v_and_b32_e32 v17, 60, v21
	v_and_b32_e32 v21, 0x7c, v89
	v_lshlrev_b32_e32 v29, 3, v17
	v_lshlrev_b32_e32 v30, 3, v21
	s_load_dwordx2 s[4:5], s[4:5], 0x8
	v_mul_lo_u32 v71, v33, v83
	v_or_b32_e32 v67, 32, v83
	global_load_dwordx4 v[17:20], v29, s[16:17] offset:240
	global_load_dwordx4 v[25:28], v30, s[16:17] offset:240
	;; [unrolled: 1-line block ×3, first 2 shown]
	v_or_b32_e32 v72, 64, v83
	v_mul_lo_u32 v100, v33, v67
	v_and_b32_e32 v62, 0x7c, v88
	global_load_dwordx4 v[29:32], v30, s[16:17] offset:256
	v_or_b32_e32 v73, 0x60, v83
	v_mul_lo_u32 v72, v33, v72
	v_mov_b32_e32 v60, 3
	v_lshlrev_b32_e32 v68, 3, v62
	global_load_dwordx4 v[63:66], v68, s[16:17] offset:240
	v_or_b32_e32 v74, 0x80, v83
	v_mul_lo_u32 v101, v33, v73
	global_load_dwordx4 v[67:70], v68, s[16:17] offset:256
	v_mul_lo_u32 v102, v33, v74
	v_lshlrev_b32_sdwa v77, v60, v71 dst_sel:DWORD dst_unused:UNUSED_PAD src0_sel:DWORD src1_sel:BYTE_0
	v_lshlrev_b32_sdwa v78, v60, v71 dst_sel:DWORD dst_unused:UNUSED_PAD src0_sel:DWORD src1_sel:BYTE_1
	s_waitcnt lgkmcnt(0)
	global_load_dwordx2 v[73:74], v77, s[4:5]
	global_load_dwordx2 v[75:76], v78, s[4:5] offset:2048
	v_lshlrev_b32_sdwa v81, v60, v100 dst_sel:DWORD dst_unused:UNUSED_PAD src0_sel:DWORD src1_sel:BYTE_0
	v_lshlrev_b32_sdwa v82, v60, v100 dst_sel:DWORD dst_unused:UNUSED_PAD src0_sel:DWORD src1_sel:BYTE_1
	v_lshlrev_b32_sdwa v92, v60, v72 dst_sel:DWORD dst_unused:UNUSED_PAD src0_sel:DWORD src1_sel:BYTE_0
	global_load_dwordx2 v[77:78], v81, s[4:5]
	global_load_dwordx2 v[79:80], v82, s[4:5] offset:2048
	v_lshlrev_b32_sdwa v93, v60, v72 dst_sel:DWORD dst_unused:UNUSED_PAD src0_sel:DWORD src1_sel:BYTE_1
	v_lshlrev_b32_sdwa v96, v60, v101 dst_sel:DWORD dst_unused:UNUSED_PAD src0_sel:DWORD src1_sel:BYTE_0
	global_load_dwordx2 v[81:82], v92, s[4:5]
	global_load_dwordx2 v[90:91], v93, s[4:5] offset:2048
	;; [unrolled: 4-line block ×3, first 2 shown]
	v_lshlrev_b32_sdwa v104, v60, v102 dst_sel:DWORD dst_unused:UNUSED_PAD src0_sel:DWORD src1_sel:BYTE_1
	global_load_dwordx2 v[96:97], v103, s[4:5]
	global_load_dwordx2 v[98:99], v104, s[4:5] offset:2048
	v_and_b32_e32 v62, 31, v87
	v_mul_lo_u32 v114, v33, v62
	v_mov_b32_e32 v61, 0x1000
	v_bfe_u32 v71, v71, 16, 8
	v_lshl_or_b32 v71, v71, 3, v61
	v_bfe_u32 v108, v100, 16, 8
	v_lshlrev_b32_sdwa v106, v60, v114 dst_sel:DWORD dst_unused:UNUSED_PAD src0_sel:DWORD src1_sel:BYTE_0
	v_lshlrev_b32_sdwa v107, v60, v114 dst_sel:DWORD dst_unused:UNUSED_PAD src0_sel:DWORD src1_sel:BYTE_1
	v_bfe_u32 v72, v72, 16, 8
	v_bfe_u32 v109, v101, 16, 8
	;; [unrolled: 1-line block ×3, first 2 shown]
	global_load_dwordx2 v[100:101], v71, s[4:5]
	global_load_dwordx2 v[102:103], v106, s[4:5]
	global_load_dwordx2 v[104:105], v107, s[4:5] offset:2048
	v_lshl_or_b32 v71, v108, 3, v61
	v_lshl_or_b32 v72, v72, 3, v61
	;; [unrolled: 1-line block ×4, first 2 shown]
	global_load_dwordx2 v[106:107], v71, s[4:5]
	global_load_dwordx2 v[108:109], v115, s[4:5]
	;; [unrolled: 1-line block ×4, first 2 shown]
	s_andn2_b64 vcc, exec, s[0:1]
	s_waitcnt vmcnt(21)
	v_mul_f32_e32 v116, v28, v16
	v_mul_f32_e32 v71, v18, v10
	;; [unrolled: 1-line block ×4, first 2 shown]
	s_waitcnt vmcnt(20)
	v_mul_f32_e32 v117, v22, v2
	v_mul_f32_e32 v72, v20, v14
	;; [unrolled: 1-line block ×7, first 2 shown]
	v_fma_f32 v119, v17, v9, -v71
	v_fmac_f32_e32 v18, v17, v10
	v_fmac_f32_e32 v28, v27, v16
	v_mul_f32_e32 v16, v24, v5
	v_fma_f32 v17, v21, v1, -v117
	s_waitcnt vmcnt(19)
	v_mul_f32_e32 v1, v30, v4
	v_fmac_f32_e32 v115, v19, v14
	v_fma_f32 v14, v25, v11, -v20
	v_fmac_f32_e32 v26, v25, v12
	v_fma_f32 v24, v23, v5, -v22
	v_fmac_f32_e32 v16, v23, v6
	v_mul_f32_e32 v23, v30, v3
	v_fma_f32 v25, v29, v3, -v1
	v_mul_f32_e32 v1, v32, v8
	v_fma_f32 v15, v27, v15, -v116
	v_fmac_f32_e32 v23, v29, v4
	v_mul_f32_e32 v27, v32, v7
	v_fma_f32 v29, v31, v7, -v1
	s_waitcnt vmcnt(18)
	v_mul_f32_e32 v3, v58, v64
	v_mul_f32_e32 v5, v54, v66
	s_waitcnt vmcnt(17)
	v_mul_f32_e32 v6, v52, v68
	v_mul_f32_e32 v7, v56, v70
	v_fma_f32 v4, v57, v63, -v3
	v_fma_f32 v3, v53, v65, -v5
	;; [unrolled: 1-line block ×4, first 2 shown]
	s_waitcnt vmcnt(15)
	v_mul_f32_e32 v7, v74, v76
	v_fma_f32 v9, v73, v75, -v7
	s_waitcnt vmcnt(13)
	v_mul_f32_e32 v7, v78, v80
	v_fma_f32 v11, v77, v79, -v7
	;; [unrolled: 3-line block ×3, first 2 shown]
	s_waitcnt vmcnt(9)
	v_mul_f32_e32 v7, v93, v95
	v_mul_f32_e32 v71, v51, v68
	v_fma_f32 v32, v92, v94, -v7
	s_waitcnt vmcnt(7)
	v_mul_f32_e32 v7, v97, v99
	v_fmac_f32_e32 v118, v21, v2
	v_mul_f32_e32 v2, v53, v66
	v_fmac_f32_e32 v71, v52, v67
	v_fma_f32 v52, v96, v98, -v7
	v_or_b32_e32 v7, 32, v62
	v_fmac_f32_e32 v2, v54, v65
	v_mul_lo_u32 v54, v33, v7
	v_bfe_u32 v7, v114, 16, 8
	v_fma_f32 v13, v19, v13, -v72
	v_mul_f32_e32 v72, v55, v70
	v_lshl_or_b32 v55, v7, 3, v61
	v_fmac_f32_e32 v27, v31, v8
	v_mul_f32_e32 v1, v57, v64
	v_fmac_f32_e32 v72, v56, v69
	v_lshlrev_b32_sdwa v56, v60, v54 dst_sel:DWORD dst_unused:UNUSED_PAD src0_sel:DWORD src1_sel:BYTE_0
	v_lshlrev_b32_sdwa v57, v60, v54 dst_sel:DWORD dst_unused:UNUSED_PAD src0_sel:DWORD src1_sel:BYTE_1
	global_load_dwordx2 v[7:8], v55, s[4:5]
	global_load_dwordx2 v[19:20], v56, s[4:5]
	global_load_dwordx2 v[21:22], v57, s[4:5] offset:2048
	v_mul_f32_e32 v10, v73, v76
	v_fmac_f32_e32 v10, v74, v75
	v_mul_f32_e32 v12, v77, v80
	v_fmac_f32_e32 v12, v78, v79
	v_mul_f32_e32 v31, v81, v91
	s_waitcnt vmcnt(9)
	v_mul_f32_e32 v57, v10, v101
	v_fmac_f32_e32 v1, v58, v63
	v_fmac_f32_e32 v31, v82, v90
	v_mul_f32_e32 v51, v92, v95
	v_fma_f32 v57, v100, v9, -v57
	v_mul_f32_e32 v58, v9, v101
	s_waitcnt vmcnt(6)
	v_mul_f32_e32 v9, v12, v107
	v_fmac_f32_e32 v51, v93, v94
	v_mul_f32_e32 v53, v96, v99
	v_fma_f32 v63, v106, v11, -v9
	s_waitcnt vmcnt(4)
	v_mul_f32_e32 v9, v31, v111
	v_fmac_f32_e32 v53, v97, v98
	v_fma_f32 v65, v110, v30, -v9
	v_mul_f32_e32 v9, v51, v109
	v_mul_f32_e32 v64, v11, v107
	v_fma_f32 v11, v108, v32, -v9
	s_waitcnt vmcnt(3)
	v_mul_f32_e32 v9, v53, v113
	v_fmac_f32_e32 v64, v106, v12
	v_fma_f32 v66, v112, v52, -v9
	v_sub_f32_e32 v9, v13, v119
	v_sub_f32_e32 v12, v17, v24
	v_fmac_f32_e32 v58, v100, v10
	v_mul_f32_e32 v10, v32, v109
	v_add_f32_e32 v32, v9, v12
	v_add_f32_e32 v9, v115, v118
	v_fma_f32 v67, -0.5, v9, v50
	v_add_f32_e32 v9, v18, v16
	v_mul_f32_e32 v30, v30, v111
	v_fmac_f32_e32 v10, v108, v51
	v_add_f32_e32 v12, v50, v18
	v_fmac_f32_e32 v50, -0.5, v9
	v_sub_f32_e32 v9, v115, v18
	v_sub_f32_e32 v51, v118, v16
	v_fmac_f32_e32 v30, v110, v31
	v_mul_f32_e32 v31, v52, v113
	v_add_f32_e32 v51, v9, v51
	v_add_f32_e32 v9, v119, v24
	v_fmac_f32_e32 v31, v112, v53
	v_fma_f32 v52, -0.5, v9, v49
	v_sub_f32_e32 v53, v115, v118
	v_sub_f32_e32 v70, v13, v17
	v_mov_b32_e32 v68, v52
	v_fmac_f32_e32 v52, 0x3f737871, v53
	v_sub_f32_e32 v69, v18, v16
	v_mov_b32_e32 v77, v50
	v_fmac_f32_e32 v50, 0xbf737871, v70
	v_sub_f32_e32 v73, v119, v24
	v_fmac_f32_e32 v52, 0xbf167918, v69
	v_fmac_f32_e32 v50, 0x3f167918, v73
	;; [unrolled: 1-line block ×4, first 2 shown]
	v_mul_f32_e32 v9, v50, v10
	v_mul_f32_e32 v10, v52, v10
	v_fma_f32 v9, v52, v11, -v9
	v_fmac_f32_e32 v10, v50, v11
	v_add_f32_e32 v11, v13, v17
	v_fma_f32 v50, -0.5, v11, v49
	v_add_f32_e32 v11, v49, v119
	v_add_f32_e32 v11, v11, v13
	;; [unrolled: 1-line block ×7, first 2 shown]
	v_mul_f32_e32 v11, v52, v58
	v_fma_f32 v11, v49, v57, -v11
	v_mul_f32_e32 v12, v49, v58
	v_mov_b32_e32 v49, v50
	v_sub_f32_e32 v13, v119, v13
	v_sub_f32_e32 v17, v24, v17
	v_fmac_f32_e32 v49, 0x3f737871, v69
	v_fmac_f32_e32 v50, 0xbf737871, v69
	v_add_f32_e32 v13, v13, v17
	v_fmac_f32_e32 v49, 0x3f167918, v53
	v_fmac_f32_e32 v50, 0xbf167918, v53
	;; [unrolled: 1-line block ×4, first 2 shown]
	v_sub_f32_e32 v13, v18, v115
	v_sub_f32_e32 v16, v16, v118
	v_add_f32_e32 v13, v13, v16
	v_mov_b32_e32 v16, v67
	v_fmac_f32_e32 v16, 0xbf737871, v73
	v_fmac_f32_e32 v67, 0x3f737871, v73
	;; [unrolled: 1-line block ×6, first 2 shown]
	v_sub_f32_e32 v13, v14, v15
	v_sub_f32_e32 v17, v29, v25
	v_fmac_f32_e32 v77, 0x3f737871, v70
	v_add_f32_e32 v13, v13, v17
	v_add_f32_e32 v17, v15, v25
	v_fmac_f32_e32 v77, 0xbf167918, v73
	v_fma_f32 v73, -0.5, v17, v47
	v_sub_f32_e32 v17, v26, v27
	v_mov_b32_e32 v58, v73
	v_fmac_f32_e32 v58, 0x3f737871, v17
	v_sub_f32_e32 v18, v28, v23
	v_fmac_f32_e32 v73, 0xbf737871, v17
	v_fmac_f32_e32 v58, 0x3f167918, v18
	;; [unrolled: 1-line block ×5, first 2 shown]
	v_sub_f32_e32 v13, v15, v14
	v_sub_f32_e32 v24, v25, v29
	v_fmac_f32_e32 v68, 0xbf737871, v53
	v_add_f32_e32 v13, v13, v24
	v_add_f32_e32 v24, v14, v29
	v_fmac_f32_e32 v68, 0x3f167918, v69
	v_fma_f32 v69, -0.5, v24, v47
	v_mov_b32_e32 v70, v69
	v_fmac_f32_e32 v70, 0xbf737871, v18
	v_fmac_f32_e32 v69, 0x3f737871, v18
	v_fmac_f32_e32 v70, 0x3f167918, v17
	v_fmac_f32_e32 v69, 0xbf167918, v17
	v_fmac_f32_e32 v70, 0x3e9e377a, v13
	v_fmac_f32_e32 v69, 0x3e9e377a, v13
	v_add_f32_e32 v13, v47, v14
	v_add_f32_e32 v13, v13, v15
	;; [unrolled: 1-line block ×4, first 2 shown]
	v_sub_f32_e32 v13, v14, v29
	v_sub_f32_e32 v14, v15, v25
	v_sub_f32_e32 v15, v26, v28
	v_sub_f32_e32 v17, v27, v23
	v_add_f32_e32 v15, v15, v17
	v_add_f32_e32 v17, v28, v23
	v_fma_f32 v74, -0.5, v17, v48
	v_mov_b32_e32 v81, v74
	v_fmac_f32_e32 v81, 0xbf737871, v13
	v_fmac_f32_e32 v74, 0x3f737871, v13
	;; [unrolled: 1-line block ×4, first 2 shown]
	v_add_f32_e32 v17, v26, v27
	v_fmac_f32_e32 v81, 0x3e9e377a, v15
	v_fmac_f32_e32 v74, 0x3e9e377a, v15
	v_add_f32_e32 v15, v48, v26
	v_fmac_f32_e32 v48, -0.5, v17
	v_mov_b32_e32 v94, v48
	v_fmac_f32_e32 v94, 0x3f737871, v14
	v_fmac_f32_e32 v48, 0xbf737871, v14
	v_fmac_f32_e32 v94, 0xbf167918, v13
	v_fmac_f32_e32 v48, 0x3f167918, v13
	v_or_b32_e32 v13, 64, v62
	v_mul_lo_u32 v29, v33, v13
	v_add_f32_e32 v15, v15, v28
	v_bfe_u32 v13, v54, 16, 8
	v_add_f32_e32 v15, v15, v23
	v_lshl_or_b32 v13, v13, 3, v61
	v_add_f32_e32 v82, v15, v27
	v_sub_f32_e32 v15, v23, v27
	global_load_dwordx2 v[23:24], v13, s[4:5]
	v_lshlrev_b32_sdwa v13, v60, v29 dst_sel:DWORD dst_unused:UNUSED_PAD src0_sel:DWORD src1_sel:BYTE_0
	v_sub_f32_e32 v17, v28, v26
	v_lshlrev_b32_sdwa v14, v60, v29 dst_sel:DWORD dst_unused:UNUSED_PAD src0_sel:DWORD src1_sel:BYTE_1
	global_load_dwordx2 v[25:26], v13, s[4:5]
	global_load_dwordx2 v[27:28], v14, s[4:5] offset:2048
	v_mul_f32_e32 v13, v16, v64
	v_add_f32_e32 v15, v17, v15
	v_fma_f32 v17, v49, v63, -v13
	v_add_f32_e32 v13, v3, v5
	v_fmac_f32_e32 v77, 0x3e9e377a, v51
	v_fma_f32 v76, -0.5, v13, v45
	v_fmac_f32_e32 v68, 0x3e9e377a, v32
	v_fmac_f32_e32 v12, v52, v57
	v_sub_f32_e32 v57, v1, v72
	v_mul_f32_e32 v13, v77, v30
	v_mov_b32_e32 v75, v76
	v_or_b32_e32 v32, 0x60, v62
	v_fmac_f32_e32 v94, 0x3e9e377a, v15
	v_fmac_f32_e32 v48, 0x3e9e377a, v15
	v_fma_f32 v15, v68, v65, -v13
	v_sub_f32_e32 v13, v4, v3
	v_sub_f32_e32 v14, v6, v5
	v_fmac_f32_e32 v75, 0x3f737871, v57
	v_sub_f32_e32 v53, v2, v71
	v_fmac_f32_e32 v76, 0xbf737871, v57
	v_mul_lo_u32 v51, v33, v32
	v_mul_f32_e32 v18, v49, v64
	v_add_f32_e32 v13, v13, v14
	v_fmac_f32_e32 v75, 0x3f167918, v53
	v_fmac_f32_e32 v76, 0xbf167918, v53
	v_bfe_u32 v29, v29, 16, 8
	v_mul_f32_e32 v56, v102, v105
	v_fmac_f32_e32 v18, v16, v63
	v_mul_f32_e32 v16, v68, v30
	v_fmac_f32_e32 v75, 0x3e9e377a, v13
	v_fmac_f32_e32 v76, 0x3e9e377a, v13
	v_mul_f32_e32 v13, v67, v31
	v_mul_f32_e32 v14, v50, v31
	v_sub_f32_e32 v30, v3, v4
	v_sub_f32_e32 v31, v5, v6
	v_lshl_or_b32 v29, v29, 3, v61
	v_mul_f32_e32 v55, v103, v105
	v_fmac_f32_e32 v56, v103, v104
	v_add_f32_e32 v63, v30, v31
	v_add_f32_e32 v31, v4, v6
	global_load_dwordx2 v[29:30], v29, s[4:5]
	v_fma_f32 v55, v102, v104, -v55
	v_fma_f32 v90, -0.5, v31, v45
	s_waitcnt vmcnt(6)
	v_mul_f32_e32 v31, v56, v8
	v_lshlrev_b32_sdwa v52, v60, v51 dst_sel:DWORD dst_unused:UNUSED_PAD src0_sel:DWORD src1_sel:BYTE_0
	v_fma_f32 v13, v50, v66, -v13
	v_fma_f32 v64, v7, v55, -v31
	v_lshlrev_b32_sdwa v54, v60, v51 dst_sel:DWORD dst_unused:UNUSED_PAD src0_sel:DWORD src1_sel:BYTE_1
	global_load_dwordx2 v[31:32], v52, s[4:5]
	global_load_dwordx2 v[49:50], v54, s[4:5] offset:2048
	v_mul_f32_e32 v55, v55, v8
	v_bfe_u32 v8, v51, 16, 8
	v_lshl_or_b32 v8, v8, 3, v61
	global_load_dwordx2 v[51:52], v8, s[4:5]
	v_fmac_f32_e32 v55, v7, v56
	v_or_b32_e32 v7, 0x80, v62
	v_mul_lo_u32 v56, v33, v7
	v_mov_b32_e32 v91, v90
	s_waitcnt vmcnt(7)
	v_mul_f32_e32 v7, v20, v22
	v_fmac_f32_e32 v91, 0xbf737871, v53
	v_fmac_f32_e32 v90, 0x3f737871, v53
	v_fma_f32 v62, v19, v21, -v7
	v_lshlrev_b32_sdwa v7, v60, v56 dst_sel:DWORD dst_unused:UNUSED_PAD src0_sel:DWORD src1_sel:BYTE_0
	v_lshlrev_b32_sdwa v53, v60, v56 dst_sel:DWORD dst_unused:UNUSED_PAD src0_sel:DWORD src1_sel:BYTE_1
	global_load_dwordx2 v[53:54], v53, s[4:5] offset:2048
	v_mul_f32_e32 v22, v19, v22
	global_load_dwordx2 v[7:8], v7, s[4:5]
	v_fmac_f32_e32 v22, v20, v21
	v_add_f32_e32 v21, v45, v4
	v_bfe_u32 v45, v56, 16, 8
	v_lshl_or_b32 v45, v45, 3, v61
	v_fmac_f32_e32 v16, v77, v65
	global_load_dwordx2 v[77:78], v45, s[4:5]
	v_mul_f32_e32 v19, v82, v55
	v_fma_f32 v19, v47, v64, -v19
	v_mul_f32_e32 v20, v47, v55
	v_and_b32_e32 v47, 31, v86
	v_add_f32_e32 v21, v21, v3
	v_mul_lo_u32 v55, v33, v47
	v_add_f32_e32 v21, v21, v5
	v_add_f32_e32 v45, v21, v6
	s_waitcnt vmcnt(9)
	v_mul_f32_e32 v21, v22, v24
	v_mul_f32_e32 v24, v62, v24
	v_sub_f32_e32 v122, v3, v5
	v_add_f32_e32 v3, v2, v71
	v_fmac_f32_e32 v24, v23, v22
	s_waitcnt vmcnt(7)
	v_mul_f32_e32 v22, v26, v28
	v_fma_f32 v123, -0.5, v3, v46
	v_fma_f32 v21, v23, v62, -v21
	v_fma_f32 v22, v25, v27, -v22
	v_mul_f32_e32 v25, v25, v28
	v_lshlrev_b32_sdwa v23, v60, v55 dst_sel:DWORD dst_unused:UNUSED_PAD src0_sel:DWORD src1_sel:BYTE_0
	v_sub_f32_e32 v120, v4, v6
	v_add_f32_e32 v4, v46, v1
	v_mul_f32_e32 v3, v81, v24
	v_mov_b32_e32 v124, v123
	v_fmac_f32_e32 v25, v26, v27
	v_lshlrev_b32_sdwa v26, v60, v55 dst_sel:DWORD dst_unused:UNUSED_PAD src0_sel:DWORD src1_sel:BYTE_1
	global_load_dwordx2 v[79:80], v23, s[4:5]
	global_load_dwordx2 v[92:93], v26, s[4:5] offset:2048
	v_add_f32_e32 v121, v4, v2
	v_fma_f32 v23, v58, v21, -v3
	v_sub_f32_e32 v3, v1, v2
	v_sub_f32_e32 v4, v72, v71
	v_fmac_f32_e32 v124, 0xbf737871, v120
	v_fmac_f32_e32 v123, 0x3f737871, v120
	v_add_f32_e32 v3, v3, v4
	v_fmac_f32_e32 v124, 0xbf167918, v122
	v_fmac_f32_e32 v123, 0x3f167918, v122
	v_sub_f32_e32 v125, v2, v1
	v_fmac_f32_e32 v124, 0x3e9e377a, v3
	v_fmac_f32_e32 v123, 0x3e9e377a, v3
	v_add_f32_e32 v3, v1, v72
	v_fmac_f32_e32 v46, -0.5, v3
	v_mul_f32_e32 v24, v58, v24
	v_fmac_f32_e32 v24, v81, v21
	v_fmac_f32_e32 v91, 0x3f167918, v57
	;; [unrolled: 1-line block ×7, first 2 shown]
	s_waitcnt vmcnt(8)
	v_mul_f32_e32 v2, v22, v30
	v_mul_f32_e32 v1, v25, v30
	v_fmac_f32_e32 v2, v29, v25
	v_fma_f32 v1, v29, v22, -v1
	v_mul_f32_e32 v3, v94, v2
	v_mul_f32_e32 v26, v70, v2
	v_fma_f32 v25, v70, v1, -v3
	v_fmac_f32_e32 v26, v94, v1
	s_waitcnt vmcnt(6)
	v_mul_f32_e32 v2, v31, v50
	v_mul_f32_e32 v1, v32, v50
	v_fmac_f32_e32 v2, v32, v49
	v_fma_f32 v1, v31, v49, -v1
	s_waitcnt vmcnt(5)
	v_mul_f32_e32 v3, v2, v52
	v_fma_f32 v3, v51, v1, -v3
	v_mul_f32_e32 v1, v1, v52
	v_fmac_f32_e32 v1, v51, v2
	v_mul_f32_e32 v2, v48, v1
	v_fma_f32 v21, v69, v3, -v2
	v_or_b32_e32 v2, 32, v47
	v_mul_lo_u32 v2, v33, v2
	v_mul_f32_e32 v22, v69, v1
	v_bfe_u32 v1, v55, 16, 8
	v_lshl_or_b32 v1, v1, 3, v61
	v_lshlrev_b32_sdwa v4, v60, v2 dst_sel:DWORD dst_unused:UNUSED_PAD src0_sel:DWORD src1_sel:BYTE_0
	v_lshlrev_b32_sdwa v5, v60, v2 dst_sel:DWORD dst_unused:UNUSED_PAD src0_sel:DWORD src1_sel:BYTE_1
	v_bfe_u32 v2, v2, 16, 8
	s_waitcnt vmcnt(3)
	v_mul_f32_e32 v81, v7, v54
	v_fmac_f32_e32 v22, v48, v3
	v_mul_f32_e32 v3, v8, v54
	v_lshl_or_b32 v2, v2, 3, v61
	global_load_dwordx2 v[94:95], v1, s[4:5]
	global_load_dwordx2 v[96:97], v4, s[4:5]
	global_load_dwordx2 v[98:99], v5, s[4:5] offset:2048
	global_load_dwordx2 v[100:101], v2, s[4:5]
	v_or_b32_e32 v1, 64, v47
	v_fmac_f32_e32 v81, v8, v53
	v_fma_f32 v3, v7, v53, -v3
	v_mul_lo_u32 v1, v33, v1
	s_waitcnt vmcnt(6)
	v_mul_f32_e32 v2, v81, v78
	v_fma_f32 v126, v77, v3, -v2
	v_or_b32_e32 v2, 0x60, v47
	v_mul_lo_u32 v2, v33, v2
	v_lshlrev_b32_sdwa v4, v60, v1 dst_sel:DWORD dst_unused:UNUSED_PAD src0_sel:DWORD src1_sel:BYTE_0
	v_lshlrev_b32_sdwa v5, v60, v1 dst_sel:DWORD dst_unused:UNUSED_PAD src0_sel:DWORD src1_sel:BYTE_1
	v_bfe_u32 v1, v1, 16, 8
	v_lshl_or_b32 v1, v1, 3, v61
	v_mul_f32_e32 v78, v3, v78
	v_lshlrev_b32_sdwa v3, v60, v2 dst_sel:DWORD dst_unused:UNUSED_PAD src0_sel:DWORD src1_sel:BYTE_0
	global_load_dwordx2 v[102:103], v4, s[4:5]
	global_load_dwordx2 v[104:105], v5, s[4:5] offset:2048
	global_load_dwordx2 v[106:107], v1, s[4:5]
	global_load_dwordx2 v[108:109], v3, s[4:5]
	v_or_b32_e32 v1, 0x80, v47
	v_mul_lo_u32 v1, v33, v1
	v_lshlrev_b32_sdwa v3, v60, v2 dst_sel:DWORD dst_unused:UNUSED_PAD src0_sel:DWORD src1_sel:BYTE_1
	v_bfe_u32 v2, v2, 16, 8
	v_lshl_or_b32 v2, v2, 3, v61
	v_lshlrev_b32_sdwa v4, v60, v1 dst_sel:DWORD dst_unused:UNUSED_PAD src0_sel:DWORD src1_sel:BYTE_0
	v_lshlrev_b32_sdwa v5, v60, v1 dst_sel:DWORD dst_unused:UNUSED_PAD src0_sel:DWORD src1_sel:BYTE_1
	global_load_dwordx2 v[110:111], v3, s[4:5] offset:2048
	global_load_dwordx2 v[112:113], v2, s[4:5]
	global_load_dwordx2 v[114:115], v4, s[4:5]
	global_load_dwordx2 v[116:117], v5, s[4:5] offset:2048
	v_and_b32_e32 v2, 31, v85
	v_mul_lo_u32 v3, v33, v2
	v_and_b32_e32 v4, 0x7c, v59
	v_bfe_u32 v1, v1, 16, 8
	v_lshlrev_b32_e32 v5, 3, v4
	v_lshlrev_b32_sdwa v4, v60, v3 dst_sel:DWORD dst_unused:UNUSED_PAD src0_sel:DWORD src1_sel:BYTE_0
	v_lshlrev_b32_sdwa v6, v60, v3 dst_sel:DWORD dst_unused:UNUSED_PAD src0_sel:DWORD src1_sel:BYTE_1
	v_bfe_u32 v3, v3, 16, 8
	v_lshl_or_b32 v1, v1, 3, v61
	v_lshl_or_b32 v3, v3, 3, v61
	v_or_b32_e32 v7, 32, v2
	global_load_dwordx2 v[118:119], v1, s[4:5]
	global_load_dwordx2 v[29:30], v4, s[4:5]
	global_load_dwordx2 v[31:32], v6, s[4:5] offset:2048
	global_load_dwordx2 v[27:28], v3, s[4:5]
	v_or_b32_e32 v3, 64, v2
	v_or_b32_e32 v8, 0x60, v2
	v_mul_lo_u32 v7, v33, v7
	v_mul_lo_u32 v3, v33, v3
	;; [unrolled: 1-line block ×3, first 2 shown]
	v_or_b32_e32 v2, 0x80, v2
	v_mul_lo_u32 v2, v33, v2
	v_lshlrev_b32_sdwa v1, v60, v7 dst_sel:DWORD dst_unused:UNUSED_PAD src0_sel:DWORD src1_sel:BYTE_0
	v_lshlrev_b32_sdwa v4, v60, v7 dst_sel:DWORD dst_unused:UNUSED_PAD src0_sel:DWORD src1_sel:BYTE_1
	v_bfe_u32 v6, v7, 16, 8
	v_lshlrev_b32_sdwa v7, v60, v3 dst_sel:DWORD dst_unused:UNUSED_PAD src0_sel:DWORD src1_sel:BYTE_0
	v_lshlrev_b32_sdwa v47, v60, v3 dst_sel:DWORD dst_unused:UNUSED_PAD src0_sel:DWORD src1_sel:BYTE_1
	v_bfe_u32 v3, v3, 16, 8
	;; [unrolled: 3-line block ×3, first 2 shown]
	v_lshl_or_b32 v6, v6, 3, v61
	v_lshl_or_b32 v3, v3, 3, v61
	;; [unrolled: 1-line block ×3, first 2 shown]
	v_lshlrev_b32_sdwa v54, v60, v2 dst_sel:DWORD dst_unused:UNUSED_PAD src0_sel:DWORD src1_sel:BYTE_0
	v_lshlrev_b32_sdwa v82, v60, v2 dst_sel:DWORD dst_unused:UNUSED_PAD src0_sel:DWORD src1_sel:BYTE_1
	v_bfe_u32 v2, v2, 16, 8
	v_lshl_or_b32 v127, v2, 3, v61
	global_load_dwordx2 v[67:68], v1, s[4:5]
	global_load_dwordx2 v[69:70], v4, s[4:5] offset:2048
	global_load_dwordx2 v[65:66], v6, s[4:5]
	global_load_dwordx2 v[61:62], v7, s[4:5]
	global_load_dwordx2 v[63:64], v47, s[4:5] offset:2048
	global_load_dwordx2 v[59:60], v3, s[4:5]
	;; [unrolled: 3-line block ×3, first 2 shown]
	global_load_dwordx2 v[49:50], v54, s[4:5]
                                        ; kill: killed $vgpr8
                                        ; kill: killed $vgpr54
                                        ; kill: killed $vgpr53
                                        ; kill: killed $vgpr3
                                        ; kill: killed $vgpr48
                                        ; kill: killed $vgpr47
                                        ; kill: killed $vgpr6
                                        ; kill: killed $vgpr7
                                        ; kill: killed $vgpr4
                                        ; kill: killed $vgpr1
	s_nop 0
	global_load_dwordx2 v[53:54], v82, s[4:5] offset:2048
	global_load_dwordx2 v[47:48], v127, s[4:5]
	global_load_dwordx4 v[1:4], v5, s[16:17] offset:256
                                        ; kill: killed $sgpr4_sgpr5
                                        ; kill: killed $vgpr127
                                        ; kill: killed $vgpr82
	s_nop 0
	global_load_dwordx4 v[5:8], v5, s[16:17] offset:240
	v_fmac_f32_e32 v78, v77, v81
	v_mul_f32_e32 v82, v73, v78
	v_mul_f32_e32 v77, v74, v78
	v_fmac_f32_e32 v82, v74, v126
	s_waitcnt vmcnt(30)
	v_mul_f32_e32 v74, v79, v93
	v_fma_f32 v81, v73, v126, -v77
	v_mul_f32_e32 v73, v80, v93
	v_fmac_f32_e32 v74, v80, v92
	v_add_f32_e32 v77, v121, v71
	v_fma_f32 v73, v79, v92, -v73
	v_add_f32_e32 v79, v77, v72
	v_sub_f32_e32 v71, v71, v72
	v_mov_b32_e32 v92, v46
	v_fmac_f32_e32 v92, 0x3f737871, v122
	v_fmac_f32_e32 v46, 0xbf737871, v122
	v_add_f32_e32 v71, v125, v71
	v_fmac_f32_e32 v92, 0xbf167918, v120
	s_waitcnt vmcnt(29)
	v_mul_f32_e32 v72, v74, v95
	v_fma_f32 v72, v94, v73, -v72
	v_mul_f32_e32 v73, v73, v95
	v_fmac_f32_e32 v73, v94, v74
	v_mul_f32_e32 v74, v79, v73
	v_mul_f32_e32 v78, v45, v73
	v_fma_f32 v77, v45, v72, -v74
	v_fmac_f32_e32 v78, v79, v72
	s_waitcnt vmcnt(27)
	v_mul_f32_e32 v72, v96, v99
	v_mul_f32_e32 v45, v97, v99
	v_fmac_f32_e32 v72, v97, v98
	v_fma_f32 v45, v96, v98, -v45
	s_waitcnt vmcnt(26)
	v_mul_f32_e32 v73, v72, v101
	v_fma_f32 v73, v100, v45, -v73
	v_mul_f32_e32 v45, v45, v101
	v_fmac_f32_e32 v45, v100, v72
	v_mul_f32_e32 v72, v124, v45
	v_fma_f32 v79, v75, v73, -v72
	s_waitcnt vmcnt(24)
	v_mul_f32_e32 v72, v102, v105
	v_fmac_f32_e32 v46, 0x3f167918, v120
	v_mul_f32_e32 v80, v75, v45
	v_mul_f32_e32 v45, v103, v105
	v_fmac_f32_e32 v72, v103, v104
	v_fma_f32 v45, v102, v104, -v45
	v_fmac_f32_e32 v92, 0x3e9e377a, v71
	v_fmac_f32_e32 v46, 0x3e9e377a, v71
	s_waitcnt vmcnt(23)
	v_mul_f32_e32 v71, v72, v107
	v_fmac_f32_e32 v80, v124, v73
	v_fma_f32 v73, v106, v45, -v71
	v_mul_f32_e32 v45, v45, v107
	v_fmac_f32_e32 v45, v106, v72
	v_mul_f32_e32 v71, v92, v45
	v_mul_f32_e32 v72, v91, v45
	v_fma_f32 v71, v91, v73, -v71
	v_fmac_f32_e32 v72, v92, v73
	s_waitcnt vmcnt(21)
	v_mul_f32_e32 v73, v108, v111
	v_mul_f32_e32 v45, v109, v111
	v_fmac_f32_e32 v73, v109, v110
	v_fma_f32 v45, v108, v110, -v45
	s_waitcnt vmcnt(20)
	v_mul_f32_e32 v74, v73, v113
	v_fma_f32 v75, v112, v45, -v74
	v_mul_f32_e32 v45, v45, v113
	v_fmac_f32_e32 v45, v112, v73
	v_mul_f32_e32 v74, v90, v45
	v_mul_f32_e32 v73, v46, v45
	v_fmac_f32_e32 v74, v46, v75
	s_waitcnt vmcnt(18)
	v_mul_f32_e32 v46, v114, v117
	v_mul_f32_e32 v45, v115, v117
	v_fmac_f32_e32 v46, v115, v116
	v_fma_f32 v73, v90, v75, -v73
	v_fma_f32 v45, v114, v116, -v45
	s_waitcnt vmcnt(17)
	v_mul_f32_e32 v75, v46, v119
	v_fma_f32 v90, v118, v45, -v75
	v_mul_f32_e32 v45, v45, v119
	v_fmac_f32_e32 v45, v118, v46
	v_mul_f32_e32 v46, v123, v45
	v_fma_f32 v75, v76, v90, -v46
	v_mul_f32_e32 v76, v76, v45
	v_fmac_f32_e32 v76, v123, v90
	s_cbranch_vccnz .LBB0_18
; %bb.17:
	v_mad_u64_u32 v[45:46], s[0:1], s12, v84, 0
	s_movk_i32 s0, 0x31f
	v_mov_b32_e32 v90, 0xa0
	v_cmp_lt_u32_e32 vcc, s0, v0
	v_cndmask_b32_e32 v90, 0, v90, vcc
	v_or_b32_e32 v96, v83, v90
	v_mad_u64_u32 v[90:91], s[0:1], s8, v96, 0
	s_waitcnt vmcnt(2)
	v_mad_u64_u32 v[92:93], s[0:1], s13, v84, v[46:47]
	v_mov_b32_e32 v46, v91
	v_mad_u64_u32 v[93:94], s[0:1], s9, v96, v[46:47]
	v_mov_b32_e32 v46, v92
	s_lshl_b64 s[0:1], s[6:7], 3
	s_add_u32 s0, s14, s0
	v_lshlrev_b64 v[45:46], 3, v[45:46]
	s_addc_u32 s1, s15, s1
	v_mov_b32_e32 v92, s1
	v_add_co_u32_e32 v45, vcc, s0, v45
	v_add_u32_e32 v94, 32, v96
	v_mov_b32_e32 v91, v93
	v_addc_co_u32_e32 v46, vcc, v92, v46, vcc
	v_mad_u64_u32 v[92:93], s[0:1], s8, v94, 0
	v_or_b32_e32 v97, 64, v96
	v_lshlrev_b64 v[90:91], 3, v[90:91]
	v_mad_u64_u32 v[93:94], s[0:1], s9, v94, v[93:94]
	v_mad_u64_u32 v[94:95], s[0:1], s8, v97, 0
	v_add_co_u32_e32 v90, vcc, v45, v90
	v_addc_co_u32_e32 v91, vcc, v46, v91, vcc
	global_store_dwordx2 v[90:91], v[11:12], off
	v_lshlrev_b64 v[90:91], 3, v[92:93]
	v_mov_b32_e32 v92, v95
	v_mad_u64_u32 v[92:93], s[0:1], s9, v97, v[92:93]
	v_add_co_u32_e32 v90, vcc, v45, v90
	v_addc_co_u32_e32 v91, vcc, v46, v91, vcc
	v_mov_b32_e32 v95, v92
	global_store_dwordx2 v[90:91], v[17:18], off
	v_lshlrev_b64 v[90:91], 3, v[94:95]
	v_add_u32_e32 v94, 0x60, v96
	v_mad_u64_u32 v[92:93], s[0:1], s8, v94, 0
	v_add_u32_e32 v96, 0x80, v96
	v_add_co_u32_e32 v90, vcc, v45, v90
	v_mad_u64_u32 v[93:94], s[0:1], s9, v94, v[93:94]
	v_mad_u64_u32 v[94:95], s[0:1], s8, v96, 0
	v_addc_co_u32_e32 v91, vcc, v46, v91, vcc
	global_store_dwordx2 v[90:91], v[15:16], off
	v_lshlrev_b64 v[90:91], 3, v[92:93]
	v_mov_b32_e32 v92, v95
	v_mad_u64_u32 v[92:93], s[0:1], s9, v96, v[92:93]
	s_movk_i32 s4, 0x180
	v_and_or_b32 v96, v89, s4, v87
	v_mov_b32_e32 v95, v92
	v_mad_u64_u32 v[92:93], s[0:1], s8, v96, 0
	v_add_co_u32_e32 v90, vcc, v45, v90
	v_addc_co_u32_e32 v91, vcc, v46, v91, vcc
	global_store_dwordx2 v[90:91], v[9:10], off
	v_lshlrev_b64 v[90:91], 3, v[94:95]
	v_mad_u64_u32 v[93:94], s[0:1], s9, v96, v[93:94]
	v_add_u32_e32 v97, 32, v96
	v_mad_u64_u32 v[94:95], s[0:1], s8, v97, 0
	v_add_co_u32_e32 v90, vcc, v45, v90
	v_addc_co_u32_e32 v91, vcc, v46, v91, vcc
	global_store_dwordx2 v[90:91], v[13:14], off
	v_lshlrev_b64 v[90:91], 3, v[92:93]
	v_mov_b32_e32 v92, v95
	v_mad_u64_u32 v[92:93], s[0:1], s9, v97, v[92:93]
	v_add_co_u32_e32 v90, vcc, v45, v90
	v_addc_co_u32_e32 v91, vcc, v46, v91, vcc
	v_mov_b32_e32 v95, v92
	global_store_dwordx2 v[90:91], v[19:20], off
	v_lshlrev_b64 v[90:91], 3, v[94:95]
	v_add_u32_e32 v94, 64, v96
	v_mad_u64_u32 v[92:93], s[0:1], s8, v94, 0
	v_add_u32_e32 v97, 0x60, v96
	v_add_co_u32_e32 v90, vcc, v45, v90
	v_mad_u64_u32 v[93:94], s[0:1], s9, v94, v[93:94]
	v_mad_u64_u32 v[94:95], s[0:1], s8, v97, 0
	v_addc_co_u32_e32 v91, vcc, v46, v91, vcc
	global_store_dwordx2 v[90:91], v[23:24], off
	v_lshlrev_b64 v[90:91], 3, v[92:93]
	v_mov_b32_e32 v92, v95
	v_mad_u64_u32 v[92:93], s[0:1], s9, v97, v[92:93]
	v_add_co_u32_e32 v90, vcc, v45, v90
	v_addc_co_u32_e32 v91, vcc, v46, v91, vcc
	v_mov_b32_e32 v95, v92
	global_store_dwordx2 v[90:91], v[25:26], off
	v_lshlrev_b64 v[90:91], 3, v[94:95]
	v_add_u32_e32 v94, 0x80, v96
	v_mad_u64_u32 v[92:93], s[0:1], s8, v94, 0
	v_and_or_b32 v96, v88, s4, v86
	v_add_co_u32_e32 v90, vcc, v45, v90
	v_mad_u64_u32 v[93:94], s[0:1], s9, v94, v[93:94]
	v_mad_u64_u32 v[94:95], s[0:1], s8, v96, 0
	v_addc_co_u32_e32 v91, vcc, v46, v91, vcc
	global_store_dwordx2 v[90:91], v[21:22], off
	v_lshlrev_b64 v[90:91], 3, v[92:93]
	v_mov_b32_e32 v92, v95
	v_mad_u64_u32 v[92:93], s[0:1], s9, v96, v[92:93]
	v_add_co_u32_e32 v90, vcc, v45, v90
	v_addc_co_u32_e32 v91, vcc, v46, v91, vcc
	v_mov_b32_e32 v95, v92
	global_store_dwordx2 v[90:91], v[81:82], off
	v_lshlrev_b64 v[90:91], 3, v[94:95]
	v_add_u32_e32 v94, 32, v96
	v_mad_u64_u32 v[92:93], s[0:1], s8, v94, 0
	v_add_u32_e32 v97, 64, v96
	v_add_co_u32_e32 v90, vcc, v45, v90
	v_mad_u64_u32 v[93:94], s[0:1], s9, v94, v[93:94]
	v_mad_u64_u32 v[94:95], s[0:1], s8, v97, 0
	v_addc_co_u32_e32 v91, vcc, v46, v91, vcc
	global_store_dwordx2 v[90:91], v[77:78], off
	v_lshlrev_b64 v[90:91], 3, v[92:93]
	v_mov_b32_e32 v92, v95
	v_mad_u64_u32 v[92:93], s[0:1], s9, v97, v[92:93]
	v_add_co_u32_e32 v90, vcc, v45, v90
	v_addc_co_u32_e32 v91, vcc, v46, v91, vcc
	v_mov_b32_e32 v95, v92
	global_store_dwordx2 v[90:91], v[79:80], off
	v_lshlrev_b64 v[90:91], 3, v[94:95]
	v_add_u32_e32 v94, 0x60, v96
	v_mad_u64_u32 v[92:93], s[0:1], s8, v94, 0
	v_add_u32_e32 v96, 0x80, v96
	v_add_co_u32_e32 v90, vcc, v45, v90
	v_mad_u64_u32 v[93:94], s[0:1], s9, v94, v[93:94]
	v_mad_u64_u32 v[94:95], s[0:1], s8, v96, 0
	v_addc_co_u32_e32 v91, vcc, v46, v91, vcc
	global_store_dwordx2 v[90:91], v[71:72], off
	v_lshlrev_b64 v[90:91], 3, v[92:93]
	v_mov_b32_e32 v92, v95
	v_mad_u64_u32 v[92:93], s[0:1], s9, v96, v[92:93]
	v_add_co_u32_e32 v90, vcc, v45, v90
	v_addc_co_u32_e32 v91, vcc, v46, v91, vcc
	v_mov_b32_e32 v95, v92
	global_store_dwordx2 v[90:91], v[73:74], off
	v_lshlrev_b64 v[90:91], 3, v[94:95]
	v_add_co_u32_e32 v90, vcc, v45, v90
	v_addc_co_u32_e32 v91, vcc, v46, v91, vcc
	s_and_b64 s[0:1], s[2:3], exec
	global_store_dwordx2 v[90:91], v[75:76], off
	s_cbranch_execz .LBB0_19
	s_branch .LBB0_22
.LBB0_18:
	s_mov_b64 s[0:1], 0
                                        ; implicit-def: $vgpr45_vgpr46
.LBB0_19:
	v_cmp_gt_u64_e32 vcc, s[10:11], v[33:34]
                                        ; implicit-def: $vgpr45_vgpr46
	s_and_saveexec_b64 s[4:5], vcc
	s_cbranch_execz .LBB0_21
; %bb.20:
	v_mad_u64_u32 v[33:34], s[10:11], s12, v84, 0
	s_movk_i32 s10, 0x31f
	v_mov_b32_e32 v45, 0xa0
	v_cmp_lt_u32_e32 vcc, s10, v0
	v_cndmask_b32_e32 v0, 0, v45, vcc
	v_or_b32_e32 v94, v83, v0
	v_mad_u64_u32 v[90:91], s[10:11], s8, v94, 0
	v_mov_b32_e32 v0, v34
	s_waitcnt vmcnt(1)
	v_mad_u64_u32 v[45:46], s[10:11], s13, v84, v[0:1]
	v_mov_b32_e32 v0, v91
	v_mad_u64_u32 v[91:92], s[10:11], s9, v94, v[0:1]
	v_mov_b32_e32 v34, v45
	s_lshl_b64 s[6:7], s[6:7], 3
	s_add_u32 s6, s14, s6
	v_lshlrev_b64 v[33:34], 3, v[33:34]
	s_addc_u32 s7, s15, s7
	v_mov_b32_e32 v0, s7
	v_add_co_u32_e32 v45, vcc, s6, v33
	v_add_u32_e32 v84, 32, v94
	v_addc_co_u32_e32 v46, vcc, v0, v34, vcc
	v_lshlrev_b64 v[33:34], 3, v[90:91]
	v_mad_u64_u32 v[90:91], s[6:7], s8, v84, 0
	v_add_co_u32_e32 v33, vcc, v45, v33
	v_mov_b32_e32 v0, v91
	v_mad_u64_u32 v[91:92], s[6:7], s9, v84, v[0:1]
	v_or_b32_e32 v84, 64, v94
	v_mad_u64_u32 v[92:93], s[6:7], s8, v84, 0
	v_addc_co_u32_e32 v34, vcc, v46, v34, vcc
	v_mov_b32_e32 v0, v93
	global_store_dwordx2 v[33:34], v[11:12], off
	v_mad_u64_u32 v[33:34], s[6:7], s9, v84, v[0:1]
	v_lshlrev_b64 v[11:12], 3, v[90:91]
	s_movk_i32 s10, 0x180
	v_add_co_u32_e32 v11, vcc, v45, v11
	v_addc_co_u32_e32 v12, vcc, v46, v12, vcc
	v_mov_b32_e32 v93, v33
	v_add_u32_e32 v33, 0x60, v94
	global_store_dwordx2 v[11:12], v[17:18], off
	v_mad_u64_u32 v[17:18], s[6:7], s8, v33, 0
	v_lshlrev_b64 v[11:12], 3, v[92:93]
	s_andn2_b64 s[0:1], s[0:1], exec
	v_mov_b32_e32 v0, v18
	v_mad_u64_u32 v[33:34], s[6:7], s9, v33, v[0:1]
	v_add_co_u32_e32 v11, vcc, v45, v11
	v_addc_co_u32_e32 v12, vcc, v46, v12, vcc
	v_add_u32_e32 v34, 0x80, v94
	v_mov_b32_e32 v18, v33
	v_mad_u64_u32 v[90:91], s[6:7], s8, v34, 0
	global_store_dwordx2 v[11:12], v[15:16], off
	v_lshlrev_b64 v[11:12], 3, v[17:18]
	v_and_or_b32 v18, v89, s10, v87
	v_add_co_u32_e32 v11, vcc, v45, v11
	v_addc_co_u32_e32 v12, vcc, v46, v12, vcc
	v_mov_b32_e32 v0, v91
	global_store_dwordx2 v[11:12], v[9:10], off
	v_mad_u64_u32 v[11:12], s[6:7], s8, v18, 0
	v_mad_u64_u32 v[15:16], s[6:7], s9, v34, v[0:1]
	v_mov_b32_e32 v0, v12
	v_add_u32_e32 v33, 32, v18
	v_mov_b32_e32 v91, v15
	v_mad_u64_u32 v[15:16], s[6:7], s9, v18, v[0:1]
	v_mad_u64_u32 v[16:17], s[6:7], s8, v33, 0
	v_lshlrev_b64 v[9:10], 3, v[90:91]
	v_mov_b32_e32 v12, v15
	v_add_co_u32_e32 v9, vcc, v45, v9
	v_addc_co_u32_e32 v10, vcc, v46, v10, vcc
	v_mov_b32_e32 v0, v17
	global_store_dwordx2 v[9:10], v[13:14], off
	v_lshlrev_b64 v[9:10], 3, v[11:12]
	v_mad_u64_u32 v[11:12], s[6:7], s9, v33, v[0:1]
	v_add_u32_e32 v13, 64, v18
	v_add_co_u32_e32 v9, vcc, v45, v9
	v_mov_b32_e32 v17, v11
	v_mad_u64_u32 v[11:12], s[6:7], s8, v13, 0
	v_add_u32_e32 v15, 0x60, v18
	v_addc_co_u32_e32 v10, vcc, v46, v10, vcc
	v_mov_b32_e32 v0, v12
	v_mad_u64_u32 v[12:13], s[6:7], s9, v13, v[0:1]
	v_mad_u64_u32 v[13:14], s[6:7], s8, v15, 0
	global_store_dwordx2 v[9:10], v[19:20], off
	v_lshlrev_b64 v[9:10], 3, v[16:17]
	v_mov_b32_e32 v0, v14
	v_add_co_u32_e32 v9, vcc, v45, v9
	v_addc_co_u32_e32 v10, vcc, v46, v10, vcc
	global_store_dwordx2 v[9:10], v[23:24], off
	v_lshlrev_b64 v[9:10], 3, v[11:12]
	v_mad_u64_u32 v[11:12], s[6:7], s9, v15, v[0:1]
	v_add_co_u32_e32 v9, vcc, v45, v9
	v_addc_co_u32_e32 v10, vcc, v46, v10, vcc
	v_mov_b32_e32 v14, v11
	global_store_dwordx2 v[9:10], v[25:26], off
	v_lshlrev_b64 v[9:10], 3, v[13:14]
	v_add_u32_e32 v13, 0x80, v18
	v_mad_u64_u32 v[11:12], s[6:7], s8, v13, 0
	v_and_or_b32 v15, v88, s10, v86
	v_add_co_u32_e32 v9, vcc, v45, v9
	v_mov_b32_e32 v0, v12
	v_mad_u64_u32 v[12:13], s[6:7], s9, v13, v[0:1]
	v_mad_u64_u32 v[13:14], s[6:7], s8, v15, 0
	v_addc_co_u32_e32 v10, vcc, v46, v10, vcc
	v_mov_b32_e32 v0, v14
	global_store_dwordx2 v[9:10], v[21:22], off
	v_lshlrev_b64 v[9:10], 3, v[11:12]
	v_mad_u64_u32 v[11:12], s[6:7], s9, v15, v[0:1]
	v_add_co_u32_e32 v9, vcc, v45, v9
	v_addc_co_u32_e32 v10, vcc, v46, v10, vcc
	v_mov_b32_e32 v14, v11
	global_store_dwordx2 v[9:10], v[81:82], off
	v_lshlrev_b64 v[9:10], 3, v[13:14]
	v_add_u32_e32 v13, 32, v15
	v_mad_u64_u32 v[11:12], s[6:7], s8, v13, 0
	v_add_u32_e32 v16, 64, v15
	v_add_co_u32_e32 v9, vcc, v45, v9
	v_mov_b32_e32 v0, v12
	v_mad_u64_u32 v[12:13], s[6:7], s9, v13, v[0:1]
	v_mad_u64_u32 v[13:14], s[6:7], s8, v16, 0
	v_addc_co_u32_e32 v10, vcc, v46, v10, vcc
	v_mov_b32_e32 v0, v14
	global_store_dwordx2 v[9:10], v[77:78], off
	v_lshlrev_b64 v[9:10], 3, v[11:12]
	v_mad_u64_u32 v[11:12], s[6:7], s9, v16, v[0:1]
	v_add_co_u32_e32 v9, vcc, v45, v9
	v_addc_co_u32_e32 v10, vcc, v46, v10, vcc
	v_mov_b32_e32 v14, v11
	global_store_dwordx2 v[9:10], v[79:80], off
	v_lshlrev_b64 v[9:10], 3, v[13:14]
	v_add_u32_e32 v13, 0x60, v15
	v_mad_u64_u32 v[11:12], s[6:7], s8, v13, 0
	v_add_u32_e32 v15, 0x80, v15
	v_add_co_u32_e32 v9, vcc, v45, v9
	v_mov_b32_e32 v0, v12
	v_mad_u64_u32 v[12:13], s[6:7], s9, v13, v[0:1]
	v_mad_u64_u32 v[13:14], s[6:7], s8, v15, 0
	v_addc_co_u32_e32 v10, vcc, v46, v10, vcc
	v_mov_b32_e32 v0, v14
	global_store_dwordx2 v[9:10], v[71:72], off
	v_lshlrev_b64 v[9:10], 3, v[11:12]
	v_mad_u64_u32 v[11:12], s[6:7], s9, v15, v[0:1]
	v_add_co_u32_e32 v9, vcc, v45, v9
	v_addc_co_u32_e32 v10, vcc, v46, v10, vcc
	v_mov_b32_e32 v14, v11
	global_store_dwordx2 v[9:10], v[73:74], off
	v_lshlrev_b64 v[9:10], 3, v[13:14]
	s_and_b64 s[2:3], s[2:3], exec
	v_add_co_u32_e32 v9, vcc, v45, v9
	v_addc_co_u32_e32 v10, vcc, v46, v10, vcc
	s_or_b64 s[0:1], s[0:1], s[2:3]
	global_store_dwordx2 v[9:10], v[75:76], off
.LBB0_21:
	s_or_b64 exec, exec, s[4:5]
.LBB0_22:
	s_and_saveexec_b64 s[2:3], s[0:1]
	s_cbranch_execnz .LBB0_24
; %bb.23:
	s_endpgm
.LBB0_24:
	s_waitcnt vmcnt(0)
	v_mul_f32_e32 v0, v44, v6
	v_mul_f32_e32 v6, v43, v6
	v_fma_f32 v0, v43, v5, -v0
	v_fmac_f32_e32 v6, v44, v5
	v_mul_f32_e32 v5, v42, v8
	v_mul_f32_e32 v8, v41, v8
	v_fma_f32 v5, v41, v7, -v5
	v_fmac_f32_e32 v8, v42, v7
	v_mul_f32_e32 v7, v40, v2
	v_fma_f32 v7, v39, v1, -v7
	v_mul_f32_e32 v2, v39, v2
	v_fmac_f32_e32 v2, v40, v1
	v_mul_f32_e32 v1, v38, v4
	v_mul_f32_e32 v4, v37, v4
	v_add_f32_e32 v9, v5, v7
	v_fmac_f32_e32 v4, v38, v3
	v_fma_f32 v11, -0.5, v9, v35
	v_fma_f32 v1, v37, v3, -v1
	v_sub_f32_e32 v9, v6, v4
	v_mov_b32_e32 v10, v11
	v_fmac_f32_e32 v10, 0x3f737871, v9
	v_sub_f32_e32 v12, v8, v2
	v_sub_f32_e32 v13, v0, v5
	;; [unrolled: 1-line block ×3, first 2 shown]
	v_fmac_f32_e32 v11, 0xbf737871, v9
	v_fmac_f32_e32 v10, 0x3f167918, v12
	v_add_f32_e32 v13, v13, v14
	v_fmac_f32_e32 v11, 0xbf167918, v12
	v_fmac_f32_e32 v10, 0x3e9e377a, v13
	;; [unrolled: 1-line block ×3, first 2 shown]
	v_add_f32_e32 v13, v0, v1
	v_add_f32_e32 v3, v35, v0
	v_fmac_f32_e32 v35, -0.5, v13
	v_mov_b32_e32 v13, v35
	v_fmac_f32_e32 v13, 0xbf737871, v12
	v_sub_f32_e32 v14, v5, v0
	v_sub_f32_e32 v15, v7, v1
	v_fmac_f32_e32 v35, 0x3f737871, v12
	v_add_f32_e32 v12, v8, v2
	v_add_f32_e32 v3, v3, v5
	v_fmac_f32_e32 v13, 0x3f167918, v9
	v_add_f32_e32 v14, v14, v15
	v_fmac_f32_e32 v35, 0xbf167918, v9
	v_fma_f32 v12, -0.5, v12, v36
	v_add_f32_e32 v3, v3, v7
	v_fmac_f32_e32 v13, 0x3e9e377a, v14
	v_fmac_f32_e32 v35, 0x3e9e377a, v14
	v_sub_f32_e32 v0, v0, v1
	v_mov_b32_e32 v14, v12
	v_add_f32_e32 v3, v3, v1
	v_fmac_f32_e32 v14, 0xbf737871, v0
	v_sub_f32_e32 v1, v5, v7
	v_sub_f32_e32 v5, v6, v8
	v_sub_f32_e32 v7, v4, v2
	v_fmac_f32_e32 v12, 0x3f737871, v0
	v_fmac_f32_e32 v14, 0xbf167918, v1
	v_add_f32_e32 v5, v5, v7
	v_fmac_f32_e32 v12, 0x3f167918, v1
	v_fmac_f32_e32 v14, 0x3e9e377a, v5
	;; [unrolled: 1-line block ×3, first 2 shown]
	v_add_f32_e32 v5, v6, v4
	v_add_f32_e32 v9, v36, v6
	v_fmac_f32_e32 v36, -0.5, v5
	v_mov_b32_e32 v7, v36
	v_fmac_f32_e32 v7, 0x3f737871, v1
	v_fmac_f32_e32 v36, 0xbf737871, v1
	v_add_f32_e32 v9, v9, v8
	v_fmac_f32_e32 v7, 0xbf167918, v0
	v_fmac_f32_e32 v36, 0x3f167918, v0
	v_mul_f32_e32 v0, v30, v32
	v_add_f32_e32 v9, v9, v2
	v_sub_f32_e32 v5, v8, v6
	v_sub_f32_e32 v2, v2, v4
	v_fma_f32 v0, v29, v31, -v0
	v_mul_f32_e32 v1, v29, v32
	v_add_f32_e32 v9, v9, v4
	v_add_f32_e32 v2, v5, v2
	v_fmac_f32_e32 v1, v30, v31
	v_mul_f32_e32 v4, v0, v28
	v_fmac_f32_e32 v7, 0x3e9e377a, v2
	v_fmac_f32_e32 v36, 0x3e9e377a, v2
	v_mul_f32_e32 v2, v1, v28
	v_fmac_f32_e32 v4, v27, v1
	v_fma_f32 v2, v27, v0, -v2
	v_mul_f32_e32 v0, v9, v4
	v_mul_f32_e32 v1, v3, v4
	v_fma_f32 v0, v3, v2, -v0
	v_fmac_f32_e32 v1, v9, v2
	v_mul_f32_e32 v2, v68, v70
	v_fma_f32 v2, v67, v69, -v2
	v_mul_f32_e32 v3, v67, v70
	v_fmac_f32_e32 v3, v68, v69
	v_mul_f32_e32 v5, v2, v66
	v_mul_f32_e32 v4, v3, v66
	v_fmac_f32_e32 v5, v65, v3
	v_fma_f32 v4, v65, v2, -v4
	v_mul_f32_e32 v2, v14, v5
	v_mul_f32_e32 v3, v10, v5
	v_fma_f32 v2, v10, v4, -v2
	v_fmac_f32_e32 v3, v14, v4
	v_mul_f32_e32 v4, v62, v64
	v_fma_f32 v4, v61, v63, -v4
	v_mul_f32_e32 v5, v61, v64
	v_fmac_f32_e32 v5, v62, v63
	v_mul_f32_e32 v8, v4, v60
	;; [unrolled: 12-line block ×3, first 2 shown]
	v_mul_f32_e32 v8, v7, v52
	v_fmac_f32_e32 v9, v51, v7
	v_fma_f32 v8, v51, v6, -v8
	v_mul_f32_e32 v6, v36, v9
	v_mul_f32_e32 v7, v35, v9
	;; [unrolled: 1-line block ×3, first 2 shown]
	v_fma_f32 v6, v35, v8, -v6
	v_fmac_f32_e32 v7, v36, v8
	v_mul_f32_e32 v8, v50, v54
	v_fmac_f32_e32 v13, v50, v53
	v_fma_f32 v10, v49, v53, -v8
	v_mul_f32_e32 v8, v13, v48
	v_fma_f32 v14, v47, v10, -v8
	v_mad_u64_u32 v[8:9], s[0:1], s8, v85, 0
	v_mul_f32_e32 v15, v10, v48
	v_fmac_f32_e32 v15, v47, v13
	v_mul_f32_e32 v13, v12, v15
	v_mad_u64_u32 v[9:10], s[0:1], s9, v85, v[9:10]
	v_fma_f32 v10, v11, v14, -v13
	v_mul_f32_e32 v11, v11, v15
	v_fmac_f32_e32 v11, v12, v14
	v_add_u32_e32 v14, 62, v83
	v_mad_u64_u32 v[12:13], s[0:1], s8, v14, 0
	v_add_u32_e32 v16, 0x5e, v83
	v_lshlrev_b64 v[8:9], 3, v[8:9]
	v_mad_u64_u32 v[13:14], s[0:1], s9, v14, v[13:14]
	v_mad_u64_u32 v[14:15], s[0:1], s8, v16, 0
	v_add_co_u32_e32 v8, vcc, v45, v8
	v_addc_co_u32_e32 v9, vcc, v46, v9, vcc
	global_store_dwordx2 v[8:9], v[0:1], off
	v_mov_b32_e32 v8, v15
	v_mad_u64_u32 v[8:9], s[0:1], s9, v16, v[8:9]
	v_lshlrev_b64 v[0:1], 3, v[12:13]
	v_add_co_u32_e32 v0, vcc, v45, v0
	v_addc_co_u32_e32 v1, vcc, v46, v1, vcc
	v_mov_b32_e32 v15, v8
	v_add_u32_e32 v8, 0x7e, v83
	global_store_dwordx2 v[0:1], v[2:3], off
	v_mad_u64_u32 v[2:3], s[0:1], s8, v8, 0
	v_lshlrev_b64 v[0:1], 3, v[14:15]
	v_mad_u64_u32 v[8:9], s[0:1], s9, v8, v[3:4]
	v_add_u32_e32 v9, 0x9e, v83
	v_mad_u64_u32 v[12:13], s[0:1], s8, v9, 0
	v_add_co_u32_e32 v0, vcc, v45, v0
	v_addc_co_u32_e32 v1, vcc, v46, v1, vcc
	v_mov_b32_e32 v3, v8
	global_store_dwordx2 v[0:1], v[4:5], off
	v_lshlrev_b64 v[0:1], 3, v[2:3]
	v_mov_b32_e32 v2, v13
	v_mad_u64_u32 v[2:3], s[0:1], s9, v9, v[2:3]
	v_add_co_u32_e32 v0, vcc, v45, v0
	v_addc_co_u32_e32 v1, vcc, v46, v1, vcc
	v_mov_b32_e32 v13, v2
	global_store_dwordx2 v[0:1], v[6:7], off
	v_lshlrev_b64 v[0:1], 3, v[12:13]
	v_add_co_u32_e32 v0, vcc, v45, v0
	v_addc_co_u32_e32 v1, vcc, v46, v1, vcc
	global_store_dwordx2 v[0:1], v[10:11], off
	s_endpgm
	.section	.rodata,"a",@progbits
	.p2align	6, 0x0
	.amdhsa_kernel fft_rtc_fwd_len160_factors_2_4_4_5_wgs_250_tpt_10_dim3_sp_ip_CI_sbcc_twdbase8_3step_dirReg
		.amdhsa_group_segment_fixed_size 0
		.amdhsa_private_segment_fixed_size 0
		.amdhsa_kernarg_size 88
		.amdhsa_user_sgpr_count 6
		.amdhsa_user_sgpr_private_segment_buffer 1
		.amdhsa_user_sgpr_dispatch_ptr 0
		.amdhsa_user_sgpr_queue_ptr 0
		.amdhsa_user_sgpr_kernarg_segment_ptr 1
		.amdhsa_user_sgpr_dispatch_id 0
		.amdhsa_user_sgpr_flat_scratch_init 0
		.amdhsa_user_sgpr_private_segment_size 0
		.amdhsa_uses_dynamic_stack 0
		.amdhsa_system_sgpr_private_segment_wavefront_offset 0
		.amdhsa_system_sgpr_workgroup_id_x 1
		.amdhsa_system_sgpr_workgroup_id_y 0
		.amdhsa_system_sgpr_workgroup_id_z 0
		.amdhsa_system_sgpr_workgroup_info 0
		.amdhsa_system_vgpr_workitem_id 0
		.amdhsa_next_free_vgpr 128
		.amdhsa_next_free_sgpr 26
		.amdhsa_reserve_vcc 1
		.amdhsa_reserve_flat_scratch 0
		.amdhsa_float_round_mode_32 0
		.amdhsa_float_round_mode_16_64 0
		.amdhsa_float_denorm_mode_32 3
		.amdhsa_float_denorm_mode_16_64 3
		.amdhsa_dx10_clamp 1
		.amdhsa_ieee_mode 1
		.amdhsa_fp16_overflow 0
		.amdhsa_exception_fp_ieee_invalid_op 0
		.amdhsa_exception_fp_denorm_src 0
		.amdhsa_exception_fp_ieee_div_zero 0
		.amdhsa_exception_fp_ieee_overflow 0
		.amdhsa_exception_fp_ieee_underflow 0
		.amdhsa_exception_fp_ieee_inexact 0
		.amdhsa_exception_int_div_zero 0
	.end_amdhsa_kernel
	.text
.Lfunc_end0:
	.size	fft_rtc_fwd_len160_factors_2_4_4_5_wgs_250_tpt_10_dim3_sp_ip_CI_sbcc_twdbase8_3step_dirReg, .Lfunc_end0-fft_rtc_fwd_len160_factors_2_4_4_5_wgs_250_tpt_10_dim3_sp_ip_CI_sbcc_twdbase8_3step_dirReg
                                        ; -- End function
	.section	.AMDGPU.csdata,"",@progbits
; Kernel info:
; codeLenInByte = 12152
; NumSgprs: 30
; NumVgprs: 128
; ScratchSize: 0
; MemoryBound: 0
; FloatMode: 240
; IeeeMode: 1
; LDSByteSize: 0 bytes/workgroup (compile time only)
; SGPRBlocks: 3
; VGPRBlocks: 31
; NumSGPRsForWavesPerEU: 30
; NumVGPRsForWavesPerEU: 128
; Occupancy: 2
; WaveLimiterHint : 1
; COMPUTE_PGM_RSRC2:SCRATCH_EN: 0
; COMPUTE_PGM_RSRC2:USER_SGPR: 6
; COMPUTE_PGM_RSRC2:TRAP_HANDLER: 0
; COMPUTE_PGM_RSRC2:TGID_X_EN: 1
; COMPUTE_PGM_RSRC2:TGID_Y_EN: 0
; COMPUTE_PGM_RSRC2:TGID_Z_EN: 0
; COMPUTE_PGM_RSRC2:TIDIG_COMP_CNT: 0
	.type	__hip_cuid_c3f6beab5a139521,@object ; @__hip_cuid_c3f6beab5a139521
	.section	.bss,"aw",@nobits
	.globl	__hip_cuid_c3f6beab5a139521
__hip_cuid_c3f6beab5a139521:
	.byte	0                               ; 0x0
	.size	__hip_cuid_c3f6beab5a139521, 1

	.ident	"AMD clang version 19.0.0git (https://github.com/RadeonOpenCompute/llvm-project roc-6.4.0 25133 c7fe45cf4b819c5991fe208aaa96edf142730f1d)"
	.section	".note.GNU-stack","",@progbits
	.addrsig
	.addrsig_sym __hip_cuid_c3f6beab5a139521
	.amdgpu_metadata
---
amdhsa.kernels:
  - .args:
      - .actual_access:  read_only
        .address_space:  global
        .offset:         0
        .size:           8
        .value_kind:     global_buffer
      - .address_space:  global
        .offset:         8
        .size:           8
        .value_kind:     global_buffer
      - .actual_access:  read_only
        .address_space:  global
        .offset:         16
        .size:           8
        .value_kind:     global_buffer
      - .actual_access:  read_only
        .address_space:  global
        .offset:         24
        .size:           8
        .value_kind:     global_buffer
      - .offset:         32
        .size:           8
        .value_kind:     by_value
      - .actual_access:  read_only
        .address_space:  global
        .offset:         40
        .size:           8
        .value_kind:     global_buffer
      - .actual_access:  read_only
        .address_space:  global
        .offset:         48
        .size:           8
        .value_kind:     global_buffer
      - .offset:         56
        .size:           4
        .value_kind:     by_value
      - .actual_access:  read_only
        .address_space:  global
        .offset:         64
        .size:           8
        .value_kind:     global_buffer
      - .actual_access:  read_only
        .address_space:  global
        .offset:         72
        .size:           8
        .value_kind:     global_buffer
      - .address_space:  global
        .offset:         80
        .size:           8
        .value_kind:     global_buffer
    .group_segment_fixed_size: 0
    .kernarg_segment_align: 8
    .kernarg_segment_size: 88
    .language:       OpenCL C
    .language_version:
      - 2
      - 0
    .max_flat_workgroup_size: 250
    .name:           fft_rtc_fwd_len160_factors_2_4_4_5_wgs_250_tpt_10_dim3_sp_ip_CI_sbcc_twdbase8_3step_dirReg
    .private_segment_fixed_size: 0
    .sgpr_count:     30
    .sgpr_spill_count: 0
    .symbol:         fft_rtc_fwd_len160_factors_2_4_4_5_wgs_250_tpt_10_dim3_sp_ip_CI_sbcc_twdbase8_3step_dirReg.kd
    .uniform_work_group_size: 1
    .uses_dynamic_stack: false
    .vgpr_count:     128
    .vgpr_spill_count: 0
    .wavefront_size: 64
amdhsa.target:   amdgcn-amd-amdhsa--gfx906
amdhsa.version:
  - 1
  - 2
...

	.end_amdgpu_metadata
